;; amdgpu-corpus repo=ROCm/composable_kernel kind=compiled arch=gfx1201 opt=O3
	.amdgcn_target "amdgcn-amd-amdhsa--gfx1201"
	.amdhsa_code_object_version 6
	.section	.text._ZN2ckL12flush_icacheEv,"axG",@progbits,_ZN2ckL12flush_icacheEv,comdat
	.globl	_ZN2ckL12flush_icacheEv         ; -- Begin function _ZN2ckL12flush_icacheEv
	.p2align	8
	.type	_ZN2ckL12flush_icacheEv,@function
_ZN2ckL12flush_icacheEv:                ; @_ZN2ckL12flush_icacheEv
; %bb.0:
	;;#ASMSTART
	s_icache_inv 
	s_nop 0 
	s_nop 0 
	;; [unrolled: 1-line block ×16, first 2 shown]
	
	;;#ASMEND
	s_endpgm
	.section	.rodata,"a",@progbits
	.p2align	6, 0x0
	.amdhsa_kernel _ZN2ckL12flush_icacheEv
		.amdhsa_group_segment_fixed_size 0
		.amdhsa_private_segment_fixed_size 0
		.amdhsa_kernarg_size 0
		.amdhsa_user_sgpr_count 0
		.amdhsa_user_sgpr_dispatch_ptr 0
		.amdhsa_user_sgpr_queue_ptr 0
		.amdhsa_user_sgpr_kernarg_segment_ptr 0
		.amdhsa_user_sgpr_dispatch_id 0
		.amdhsa_user_sgpr_private_segment_size 0
		.amdhsa_wavefront_size32 1
		.amdhsa_uses_dynamic_stack 0
		.amdhsa_enable_private_segment 0
		.amdhsa_system_sgpr_workgroup_id_x 1
		.amdhsa_system_sgpr_workgroup_id_y 0
		.amdhsa_system_sgpr_workgroup_id_z 0
		.amdhsa_system_sgpr_workgroup_info 0
		.amdhsa_system_vgpr_workitem_id 0
		.amdhsa_next_free_vgpr 1
		.amdhsa_next_free_sgpr 1
		.amdhsa_reserve_vcc 0
		.amdhsa_float_round_mode_32 0
		.amdhsa_float_round_mode_16_64 0
		.amdhsa_float_denorm_mode_32 3
		.amdhsa_float_denorm_mode_16_64 3
		.amdhsa_fp16_overflow 0
		.amdhsa_workgroup_processor_mode 1
		.amdhsa_memory_ordered 1
		.amdhsa_forward_progress 1
		.amdhsa_inst_pref_size 1
		.amdhsa_round_robin_scheduling 0
		.amdhsa_exception_fp_ieee_invalid_op 0
		.amdhsa_exception_fp_denorm_src 0
		.amdhsa_exception_fp_ieee_div_zero 0
		.amdhsa_exception_fp_ieee_overflow 0
		.amdhsa_exception_fp_ieee_underflow 0
		.amdhsa_exception_fp_ieee_inexact 0
		.amdhsa_exception_int_div_zero 0
	.end_amdhsa_kernel
	.section	.text._ZN2ckL12flush_icacheEv,"axG",@progbits,_ZN2ckL12flush_icacheEv,comdat
.Lfunc_end0:
	.size	_ZN2ckL12flush_icacheEv, .Lfunc_end0-_ZN2ckL12flush_icacheEv
                                        ; -- End function
	.set _ZN2ckL12flush_icacheEv.num_vgpr, 0
	.set _ZN2ckL12flush_icacheEv.num_agpr, 0
	.set _ZN2ckL12flush_icacheEv.numbered_sgpr, 0
	.set _ZN2ckL12flush_icacheEv.num_named_barrier, 0
	.set _ZN2ckL12flush_icacheEv.private_seg_size, 0
	.set _ZN2ckL12flush_icacheEv.uses_vcc, 0
	.set _ZN2ckL12flush_icacheEv.uses_flat_scratch, 0
	.set _ZN2ckL12flush_icacheEv.has_dyn_sized_stack, 0
	.set _ZN2ckL12flush_icacheEv.has_recursion, 0
	.set _ZN2ckL12flush_icacheEv.has_indirect_call, 0
	.section	.AMDGPU.csdata,"",@progbits
; Kernel info:
; codeLenInByte = 4
; TotalNumSgprs: 0
; NumVgprs: 0
; ScratchSize: 0
; MemoryBound: 0
; FloatMode: 240
; IeeeMode: 1
; LDSByteSize: 0 bytes/workgroup (compile time only)
; SGPRBlocks: 0
; VGPRBlocks: 0
; NumSGPRsForWavesPerEU: 1
; NumVGPRsForWavesPerEU: 1
; Occupancy: 16
; WaveLimiterHint : 0
; COMPUTE_PGM_RSRC2:SCRATCH_EN: 0
; COMPUTE_PGM_RSRC2:USER_SGPR: 0
; COMPUTE_PGM_RSRC2:TRAP_HANDLER: 0
; COMPUTE_PGM_RSRC2:TGID_X_EN: 1
; COMPUTE_PGM_RSRC2:TGID_Y_EN: 0
; COMPUTE_PGM_RSRC2:TGID_Z_EN: 0
; COMPUTE_PGM_RSRC2:TIDIG_COMP_CNT: 0
	.section	.text._ZN2ck19kernel_gemm_dl_v1r3INS_28GridwiseGemmDl_km_kn_mn_v1r3ILi256EDF16_fDF16_LNS_25InMemoryDataOperationEnumE0ENS_16TensorDescriptorINS_5TupleIJNS_5EmbedINS4_IJiiEEENS4_IJNS_17integral_constantIiLi1EEEiEEELb0EEENS_7UnMergeINS4_IJiNS7_IiLi2EEEEEELb0EEENS_11PassThroughIiEEEEENS4_IJNS_8SequenceIJLi0EEEENSI_IJLi2EEEENSI_IJLi1EEEEEEENS4_IJNSI_IJLi1ELi2EEEENSI_IJLi3ELi4EEEENSI_IJLi5EEEEEEENSI_IJLi3ELi5ELi4EEEElEENS3_INS4_IJNS5_IS6_NS4_IJiS8_EEELb0EEESE_SG_EEENS4_IJSJ_SL_SK_EEESQ_SR_lEENS3_INS4_IJSU_SG_SG_EEESW_NS4_IJSN_NSI_IJLi3EEEENSI_IJLi4EEEEEEESO_lEELi128ELi128ELi16ELi2ELi4ELi4ELi1ENSI_IJLi8ELi2EEEES13_NSI_IJLi2ELi1ELi4ELi2EEEENSI_IJLi8ELi1ELi32ELi1EEEENSI_IJLi0ELi3ELi1ELi2EEEES16_NSI_IJLi1ELi1ELi4ELi1EEEES16_NSI_IJLi1ELi1ELi4ELi2EEEES14_S15_S16_S16_S17_S16_S18_NSI_IJLi0ELi1ELi2ELi3ELi4ELi5EEEELi5ELi4EEEDF16_DF16_NS3_INS4_IJSA_SE_SG_SG_NSB_INS4_IJiNS7_IiLi128EEEEEELb0EEENSF_ISC_EEEEENS4_IJSJ_SK_SL_SZ_SP_S10_EEENS4_IJSN_SO_SP_NSI_IJLi6EEEENSI_IJLi7ELi8EEEENSI_IJLi9EEEEEEENSI_IJLi6ELi7ELi8ELi9EEEElEENS3_INS4_IJSU_SE_SG_SG_S1D_S1E_EEENS4_IJSJ_SL_SK_SZ_SP_S10_EEES1K_S1L_lEENS3_INS4_IJSU_SG_SG_NSB_INS4_IJiSC_NS7_IiLi64EEEEEELb0EEES1S_EEENS4_IJSJ_SL_SK_SZ_S10_EEENS4_IJSN_SZ_S10_NSI_IJLi5ELi6ELi7EEEENSI_IJLi8ELi9ELi10EEEEEEENSI_IJLi5ELi6ELi7ELi8ELi9ELi10EEEElEENS_31BlockToCTileMap_M00_N00_M01_N01ILi128ELi128ES12_Lb0EEELb1ELb1EEEvPKT0_S24_PT1_T2_T3_T4_T5_,"axG",@progbits,_ZN2ck19kernel_gemm_dl_v1r3INS_28GridwiseGemmDl_km_kn_mn_v1r3ILi256EDF16_fDF16_LNS_25InMemoryDataOperationEnumE0ENS_16TensorDescriptorINS_5TupleIJNS_5EmbedINS4_IJiiEEENS4_IJNS_17integral_constantIiLi1EEEiEEELb0EEENS_7UnMergeINS4_IJiNS7_IiLi2EEEEEELb0EEENS_11PassThroughIiEEEEENS4_IJNS_8SequenceIJLi0EEEENSI_IJLi2EEEENSI_IJLi1EEEEEEENS4_IJNSI_IJLi1ELi2EEEENSI_IJLi3ELi4EEEENSI_IJLi5EEEEEEENSI_IJLi3ELi5ELi4EEEElEENS3_INS4_IJNS5_IS6_NS4_IJiS8_EEELb0EEESE_SG_EEENS4_IJSJ_SL_SK_EEESQ_SR_lEENS3_INS4_IJSU_SG_SG_EEESW_NS4_IJSN_NSI_IJLi3EEEENSI_IJLi4EEEEEEESO_lEELi128ELi128ELi16ELi2ELi4ELi4ELi1ENSI_IJLi8ELi2EEEES13_NSI_IJLi2ELi1ELi4ELi2EEEENSI_IJLi8ELi1ELi32ELi1EEEENSI_IJLi0ELi3ELi1ELi2EEEES16_NSI_IJLi1ELi1ELi4ELi1EEEES16_NSI_IJLi1ELi1ELi4ELi2EEEES14_S15_S16_S16_S17_S16_S18_NSI_IJLi0ELi1ELi2ELi3ELi4ELi5EEEELi5ELi4EEEDF16_DF16_NS3_INS4_IJSA_SE_SG_SG_NSB_INS4_IJiNS7_IiLi128EEEEEELb0EEENSF_ISC_EEEEENS4_IJSJ_SK_SL_SZ_SP_S10_EEENS4_IJSN_SO_SP_NSI_IJLi6EEEENSI_IJLi7ELi8EEEENSI_IJLi9EEEEEEENSI_IJLi6ELi7ELi8ELi9EEEElEENS3_INS4_IJSU_SE_SG_SG_S1D_S1E_EEENS4_IJSJ_SL_SK_SZ_SP_S10_EEES1K_S1L_lEENS3_INS4_IJSU_SG_SG_NSB_INS4_IJiSC_NS7_IiLi64EEEEEELb0EEES1S_EEENS4_IJSJ_SL_SK_SZ_S10_EEENS4_IJSN_SZ_S10_NSI_IJLi5ELi6ELi7EEEENSI_IJLi8ELi9ELi10EEEEEEENSI_IJLi5ELi6ELi7ELi8ELi9ELi10EEEElEENS_31BlockToCTileMap_M00_N00_M01_N01ILi128ELi128ES12_Lb0EEELb1ELb1EEEvPKT0_S24_PT1_T2_T3_T4_T5_,comdat
	.protected	_ZN2ck19kernel_gemm_dl_v1r3INS_28GridwiseGemmDl_km_kn_mn_v1r3ILi256EDF16_fDF16_LNS_25InMemoryDataOperationEnumE0ENS_16TensorDescriptorINS_5TupleIJNS_5EmbedINS4_IJiiEEENS4_IJNS_17integral_constantIiLi1EEEiEEELb0EEENS_7UnMergeINS4_IJiNS7_IiLi2EEEEEELb0EEENS_11PassThroughIiEEEEENS4_IJNS_8SequenceIJLi0EEEENSI_IJLi2EEEENSI_IJLi1EEEEEEENS4_IJNSI_IJLi1ELi2EEEENSI_IJLi3ELi4EEEENSI_IJLi5EEEEEEENSI_IJLi3ELi5ELi4EEEElEENS3_INS4_IJNS5_IS6_NS4_IJiS8_EEELb0EEESE_SG_EEENS4_IJSJ_SL_SK_EEESQ_SR_lEENS3_INS4_IJSU_SG_SG_EEESW_NS4_IJSN_NSI_IJLi3EEEENSI_IJLi4EEEEEEESO_lEELi128ELi128ELi16ELi2ELi4ELi4ELi1ENSI_IJLi8ELi2EEEES13_NSI_IJLi2ELi1ELi4ELi2EEEENSI_IJLi8ELi1ELi32ELi1EEEENSI_IJLi0ELi3ELi1ELi2EEEES16_NSI_IJLi1ELi1ELi4ELi1EEEES16_NSI_IJLi1ELi1ELi4ELi2EEEES14_S15_S16_S16_S17_S16_S18_NSI_IJLi0ELi1ELi2ELi3ELi4ELi5EEEELi5ELi4EEEDF16_DF16_NS3_INS4_IJSA_SE_SG_SG_NSB_INS4_IJiNS7_IiLi128EEEEEELb0EEENSF_ISC_EEEEENS4_IJSJ_SK_SL_SZ_SP_S10_EEENS4_IJSN_SO_SP_NSI_IJLi6EEEENSI_IJLi7ELi8EEEENSI_IJLi9EEEEEEENSI_IJLi6ELi7ELi8ELi9EEEElEENS3_INS4_IJSU_SE_SG_SG_S1D_S1E_EEENS4_IJSJ_SL_SK_SZ_SP_S10_EEES1K_S1L_lEENS3_INS4_IJSU_SG_SG_NSB_INS4_IJiSC_NS7_IiLi64EEEEEELb0EEES1S_EEENS4_IJSJ_SL_SK_SZ_S10_EEENS4_IJSN_SZ_S10_NSI_IJLi5ELi6ELi7EEEENSI_IJLi8ELi9ELi10EEEEEEENSI_IJLi5ELi6ELi7ELi8ELi9ELi10EEEElEENS_31BlockToCTileMap_M00_N00_M01_N01ILi128ELi128ES12_Lb0EEELb1ELb1EEEvPKT0_S24_PT1_T2_T3_T4_T5_ ; -- Begin function _ZN2ck19kernel_gemm_dl_v1r3INS_28GridwiseGemmDl_km_kn_mn_v1r3ILi256EDF16_fDF16_LNS_25InMemoryDataOperationEnumE0ENS_16TensorDescriptorINS_5TupleIJNS_5EmbedINS4_IJiiEEENS4_IJNS_17integral_constantIiLi1EEEiEEELb0EEENS_7UnMergeINS4_IJiNS7_IiLi2EEEEEELb0EEENS_11PassThroughIiEEEEENS4_IJNS_8SequenceIJLi0EEEENSI_IJLi2EEEENSI_IJLi1EEEEEEENS4_IJNSI_IJLi1ELi2EEEENSI_IJLi3ELi4EEEENSI_IJLi5EEEEEEENSI_IJLi3ELi5ELi4EEEElEENS3_INS4_IJNS5_IS6_NS4_IJiS8_EEELb0EEESE_SG_EEENS4_IJSJ_SL_SK_EEESQ_SR_lEENS3_INS4_IJSU_SG_SG_EEESW_NS4_IJSN_NSI_IJLi3EEEENSI_IJLi4EEEEEEESO_lEELi128ELi128ELi16ELi2ELi4ELi4ELi1ENSI_IJLi8ELi2EEEES13_NSI_IJLi2ELi1ELi4ELi2EEEENSI_IJLi8ELi1ELi32ELi1EEEENSI_IJLi0ELi3ELi1ELi2EEEES16_NSI_IJLi1ELi1ELi4ELi1EEEES16_NSI_IJLi1ELi1ELi4ELi2EEEES14_S15_S16_S16_S17_S16_S18_NSI_IJLi0ELi1ELi2ELi3ELi4ELi5EEEELi5ELi4EEEDF16_DF16_NS3_INS4_IJSA_SE_SG_SG_NSB_INS4_IJiNS7_IiLi128EEEEEELb0EEENSF_ISC_EEEEENS4_IJSJ_SK_SL_SZ_SP_S10_EEENS4_IJSN_SO_SP_NSI_IJLi6EEEENSI_IJLi7ELi8EEEENSI_IJLi9EEEEEEENSI_IJLi6ELi7ELi8ELi9EEEElEENS3_INS4_IJSU_SE_SG_SG_S1D_S1E_EEENS4_IJSJ_SL_SK_SZ_SP_S10_EEES1K_S1L_lEENS3_INS4_IJSU_SG_SG_NSB_INS4_IJiSC_NS7_IiLi64EEEEEELb0EEES1S_EEENS4_IJSJ_SL_SK_SZ_S10_EEENS4_IJSN_SZ_S10_NSI_IJLi5ELi6ELi7EEEENSI_IJLi8ELi9ELi10EEEEEEENSI_IJLi5ELi6ELi7ELi8ELi9ELi10EEEElEENS_31BlockToCTileMap_M00_N00_M01_N01ILi128ELi128ES12_Lb0EEELb1ELb1EEEvPKT0_S24_PT1_T2_T3_T4_T5_
	.globl	_ZN2ck19kernel_gemm_dl_v1r3INS_28GridwiseGemmDl_km_kn_mn_v1r3ILi256EDF16_fDF16_LNS_25InMemoryDataOperationEnumE0ENS_16TensorDescriptorINS_5TupleIJNS_5EmbedINS4_IJiiEEENS4_IJNS_17integral_constantIiLi1EEEiEEELb0EEENS_7UnMergeINS4_IJiNS7_IiLi2EEEEEELb0EEENS_11PassThroughIiEEEEENS4_IJNS_8SequenceIJLi0EEEENSI_IJLi2EEEENSI_IJLi1EEEEEEENS4_IJNSI_IJLi1ELi2EEEENSI_IJLi3ELi4EEEENSI_IJLi5EEEEEEENSI_IJLi3ELi5ELi4EEEElEENS3_INS4_IJNS5_IS6_NS4_IJiS8_EEELb0EEESE_SG_EEENS4_IJSJ_SL_SK_EEESQ_SR_lEENS3_INS4_IJSU_SG_SG_EEESW_NS4_IJSN_NSI_IJLi3EEEENSI_IJLi4EEEEEEESO_lEELi128ELi128ELi16ELi2ELi4ELi4ELi1ENSI_IJLi8ELi2EEEES13_NSI_IJLi2ELi1ELi4ELi2EEEENSI_IJLi8ELi1ELi32ELi1EEEENSI_IJLi0ELi3ELi1ELi2EEEES16_NSI_IJLi1ELi1ELi4ELi1EEEES16_NSI_IJLi1ELi1ELi4ELi2EEEES14_S15_S16_S16_S17_S16_S18_NSI_IJLi0ELi1ELi2ELi3ELi4ELi5EEEELi5ELi4EEEDF16_DF16_NS3_INS4_IJSA_SE_SG_SG_NSB_INS4_IJiNS7_IiLi128EEEEEELb0EEENSF_ISC_EEEEENS4_IJSJ_SK_SL_SZ_SP_S10_EEENS4_IJSN_SO_SP_NSI_IJLi6EEEENSI_IJLi7ELi8EEEENSI_IJLi9EEEEEEENSI_IJLi6ELi7ELi8ELi9EEEElEENS3_INS4_IJSU_SE_SG_SG_S1D_S1E_EEENS4_IJSJ_SL_SK_SZ_SP_S10_EEES1K_S1L_lEENS3_INS4_IJSU_SG_SG_NSB_INS4_IJiSC_NS7_IiLi64EEEEEELb0EEES1S_EEENS4_IJSJ_SL_SK_SZ_S10_EEENS4_IJSN_SZ_S10_NSI_IJLi5ELi6ELi7EEEENSI_IJLi8ELi9ELi10EEEEEEENSI_IJLi5ELi6ELi7ELi8ELi9ELi10EEEElEENS_31BlockToCTileMap_M00_N00_M01_N01ILi128ELi128ES12_Lb0EEELb1ELb1EEEvPKT0_S24_PT1_T2_T3_T4_T5_
	.p2align	8
	.type	_ZN2ck19kernel_gemm_dl_v1r3INS_28GridwiseGemmDl_km_kn_mn_v1r3ILi256EDF16_fDF16_LNS_25InMemoryDataOperationEnumE0ENS_16TensorDescriptorINS_5TupleIJNS_5EmbedINS4_IJiiEEENS4_IJNS_17integral_constantIiLi1EEEiEEELb0EEENS_7UnMergeINS4_IJiNS7_IiLi2EEEEEELb0EEENS_11PassThroughIiEEEEENS4_IJNS_8SequenceIJLi0EEEENSI_IJLi2EEEENSI_IJLi1EEEEEEENS4_IJNSI_IJLi1ELi2EEEENSI_IJLi3ELi4EEEENSI_IJLi5EEEEEEENSI_IJLi3ELi5ELi4EEEElEENS3_INS4_IJNS5_IS6_NS4_IJiS8_EEELb0EEESE_SG_EEENS4_IJSJ_SL_SK_EEESQ_SR_lEENS3_INS4_IJSU_SG_SG_EEESW_NS4_IJSN_NSI_IJLi3EEEENSI_IJLi4EEEEEEESO_lEELi128ELi128ELi16ELi2ELi4ELi4ELi1ENSI_IJLi8ELi2EEEES13_NSI_IJLi2ELi1ELi4ELi2EEEENSI_IJLi8ELi1ELi32ELi1EEEENSI_IJLi0ELi3ELi1ELi2EEEES16_NSI_IJLi1ELi1ELi4ELi1EEEES16_NSI_IJLi1ELi1ELi4ELi2EEEES14_S15_S16_S16_S17_S16_S18_NSI_IJLi0ELi1ELi2ELi3ELi4ELi5EEEELi5ELi4EEEDF16_DF16_NS3_INS4_IJSA_SE_SG_SG_NSB_INS4_IJiNS7_IiLi128EEEEEELb0EEENSF_ISC_EEEEENS4_IJSJ_SK_SL_SZ_SP_S10_EEENS4_IJSN_SO_SP_NSI_IJLi6EEEENSI_IJLi7ELi8EEEENSI_IJLi9EEEEEEENSI_IJLi6ELi7ELi8ELi9EEEElEENS3_INS4_IJSU_SE_SG_SG_S1D_S1E_EEENS4_IJSJ_SL_SK_SZ_SP_S10_EEES1K_S1L_lEENS3_INS4_IJSU_SG_SG_NSB_INS4_IJiSC_NS7_IiLi64EEEEEELb0EEES1S_EEENS4_IJSJ_SL_SK_SZ_S10_EEENS4_IJSN_SZ_S10_NSI_IJLi5ELi6ELi7EEEENSI_IJLi8ELi9ELi10EEEEEEENSI_IJLi5ELi6ELi7ELi8ELi9ELi10EEEElEENS_31BlockToCTileMap_M00_N00_M01_N01ILi128ELi128ES12_Lb0EEELb1ELb1EEEvPKT0_S24_PT1_T2_T3_T4_T5_,@function
_ZN2ck19kernel_gemm_dl_v1r3INS_28GridwiseGemmDl_km_kn_mn_v1r3ILi256EDF16_fDF16_LNS_25InMemoryDataOperationEnumE0ENS_16TensorDescriptorINS_5TupleIJNS_5EmbedINS4_IJiiEEENS4_IJNS_17integral_constantIiLi1EEEiEEELb0EEENS_7UnMergeINS4_IJiNS7_IiLi2EEEEEELb0EEENS_11PassThroughIiEEEEENS4_IJNS_8SequenceIJLi0EEEENSI_IJLi2EEEENSI_IJLi1EEEEEEENS4_IJNSI_IJLi1ELi2EEEENSI_IJLi3ELi4EEEENSI_IJLi5EEEEEEENSI_IJLi3ELi5ELi4EEEElEENS3_INS4_IJNS5_IS6_NS4_IJiS8_EEELb0EEESE_SG_EEENS4_IJSJ_SL_SK_EEESQ_SR_lEENS3_INS4_IJSU_SG_SG_EEESW_NS4_IJSN_NSI_IJLi3EEEENSI_IJLi4EEEEEEESO_lEELi128ELi128ELi16ELi2ELi4ELi4ELi1ENSI_IJLi8ELi2EEEES13_NSI_IJLi2ELi1ELi4ELi2EEEENSI_IJLi8ELi1ELi32ELi1EEEENSI_IJLi0ELi3ELi1ELi2EEEES16_NSI_IJLi1ELi1ELi4ELi1EEEES16_NSI_IJLi1ELi1ELi4ELi2EEEES14_S15_S16_S16_S17_S16_S18_NSI_IJLi0ELi1ELi2ELi3ELi4ELi5EEEELi5ELi4EEEDF16_DF16_NS3_INS4_IJSA_SE_SG_SG_NSB_INS4_IJiNS7_IiLi128EEEEEELb0EEENSF_ISC_EEEEENS4_IJSJ_SK_SL_SZ_SP_S10_EEENS4_IJSN_SO_SP_NSI_IJLi6EEEENSI_IJLi7ELi8EEEENSI_IJLi9EEEEEEENSI_IJLi6ELi7ELi8ELi9EEEElEENS3_INS4_IJSU_SE_SG_SG_S1D_S1E_EEENS4_IJSJ_SL_SK_SZ_SP_S10_EEES1K_S1L_lEENS3_INS4_IJSU_SG_SG_NSB_INS4_IJiSC_NS7_IiLi64EEEEEELb0EEES1S_EEENS4_IJSJ_SL_SK_SZ_S10_EEENS4_IJSN_SZ_S10_NSI_IJLi5ELi6ELi7EEEENSI_IJLi8ELi9ELi10EEEEEEENSI_IJLi5ELi6ELi7ELi8ELi9ELi10EEEElEENS_31BlockToCTileMap_M00_N00_M01_N01ILi128ELi128ES12_Lb0EEELb1ELb1EEEvPKT0_S24_PT1_T2_T3_T4_T5_: ; @_ZN2ck19kernel_gemm_dl_v1r3INS_28GridwiseGemmDl_km_kn_mn_v1r3ILi256EDF16_fDF16_LNS_25InMemoryDataOperationEnumE0ENS_16TensorDescriptorINS_5TupleIJNS_5EmbedINS4_IJiiEEENS4_IJNS_17integral_constantIiLi1EEEiEEELb0EEENS_7UnMergeINS4_IJiNS7_IiLi2EEEEEELb0EEENS_11PassThroughIiEEEEENS4_IJNS_8SequenceIJLi0EEEENSI_IJLi2EEEENSI_IJLi1EEEEEEENS4_IJNSI_IJLi1ELi2EEEENSI_IJLi3ELi4EEEENSI_IJLi5EEEEEEENSI_IJLi3ELi5ELi4EEEElEENS3_INS4_IJNS5_IS6_NS4_IJiS8_EEELb0EEESE_SG_EEENS4_IJSJ_SL_SK_EEESQ_SR_lEENS3_INS4_IJSU_SG_SG_EEESW_NS4_IJSN_NSI_IJLi3EEEENSI_IJLi4EEEEEEESO_lEELi128ELi128ELi16ELi2ELi4ELi4ELi1ENSI_IJLi8ELi2EEEES13_NSI_IJLi2ELi1ELi4ELi2EEEENSI_IJLi8ELi1ELi32ELi1EEEENSI_IJLi0ELi3ELi1ELi2EEEES16_NSI_IJLi1ELi1ELi4ELi1EEEES16_NSI_IJLi1ELi1ELi4ELi2EEEES14_S15_S16_S16_S17_S16_S18_NSI_IJLi0ELi1ELi2ELi3ELi4ELi5EEEELi5ELi4EEEDF16_DF16_NS3_INS4_IJSA_SE_SG_SG_NSB_INS4_IJiNS7_IiLi128EEEEEELb0EEENSF_ISC_EEEEENS4_IJSJ_SK_SL_SZ_SP_S10_EEENS4_IJSN_SO_SP_NSI_IJLi6EEEENSI_IJLi7ELi8EEEENSI_IJLi9EEEEEEENSI_IJLi6ELi7ELi8ELi9EEEElEENS3_INS4_IJSU_SE_SG_SG_S1D_S1E_EEENS4_IJSJ_SL_SK_SZ_SP_S10_EEES1K_S1L_lEENS3_INS4_IJSU_SG_SG_NSB_INS4_IJiSC_NS7_IiLi64EEEEEELb0EEES1S_EEENS4_IJSJ_SL_SK_SZ_S10_EEENS4_IJSN_SZ_S10_NSI_IJLi5ELi6ELi7EEEENSI_IJLi8ELi9ELi10EEEEEEENSI_IJLi5ELi6ELi7ELi8ELi9ELi10EEEElEENS_31BlockToCTileMap_M00_N00_M01_N01ILi128ELi128ES12_Lb0EEELb1ELb1EEEvPKT0_S24_PT1_T2_T3_T4_T5_
; %bb.0:
	s_clause 0x1
	s_load_b128 s[16:19], s[0:1], 0x11c
	s_load_b128 s[4:7], s[0:1], 0x130
	v_lshrrev_b32_e32 v1, 4, v0
	v_dual_mov_b32 v25, 0 :: v_dual_lshlrev_b32 v16, 2, v0
	s_mov_b32 s11, 0x31004000
	s_delay_alu instid0(VALU_DEP_2) | instskip(NEXT) | instid1(VALU_DEP_2)
	v_dual_mov_b32 v30, 0 :: v_dual_and_b32 v3, 14, v1
	v_dual_mov_b32 v32, 0 :: v_dual_and_b32 v17, 0x7c, v16
	v_dual_mov_b32 v70, 0 :: v_dual_mov_b32 v31, 0
	s_delay_alu instid0(VALU_DEP_3) | instskip(SKIP_4) | instid1(VALU_DEP_4)
	v_lshlrev_b32_e32 v2, 1, v3
	v_lshrrev_b32_e32 v18, 5, v0
	v_mov_b32_e32 v56, 0
	v_dual_mov_b32 v34, 0 :: v_dual_mov_b32 v37, 0
	v_dual_mov_b32 v36, 0 :: v_dual_mov_b32 v39, 0
	v_lshlrev_b32_e32 v20, 3, v18
	s_wait_kmcnt 0x0
	s_mul_hi_u32 s2, s19, ttmp9
	s_clause 0x1
	s_load_b32 s8, s[0:1], 0x50
	s_load_b32 s19, s[0:1], 0x60
	s_add_co_i32 s2, ttmp9, s2
	s_clause 0x1
	s_load_b32 s9, s[0:1], 0xfc
	s_load_b128 s[24:27], s[0:1], 0x108
	s_lshr_b32 s7, s2, s7
	v_dual_mov_b32 v38, 0 :: v_dual_mov_b32 v41, 0
	s_mul_hi_u32 s2, s7, s18
	v_dual_mov_b32 v40, 0 :: v_dual_mov_b32 v55, 0
	s_add_co_i32 s10, s7, s2
	s_clause 0x4
	s_load_b32 s20, s[0:1], 0x24
	s_load_b32 s21, s[0:1], 0x38
	;; [unrolled: 1-line block ×4, first 2 shown]
	s_load_b64 s[2:3], s[0:1], 0xd0
	s_wait_kmcnt 0x0
	s_load_b32 s3, s[0:1], 0xec
	s_lshr_b32 s6, s10, s6
	s_clause 0x1
	s_load_b128 s[12:15], s[0:1], 0x0
	s_load_b64 s[0:1], s[0:1], 0x10
	s_mul_hi_u32 s10, s6, s17
	v_dual_mov_b32 v58, 0 :: v_dual_mov_b32 v59, 0
	s_add_co_i32 s10, s6, s10
	v_dual_mov_b32 v65, 0 :: v_dual_mov_b32 v50, 0
	s_lshr_b32 s5, s10, s5
	v_mul_lo_u32 v4, s19, v2
	s_mul_hi_u32 s10, s5, s16
	s_lshl_b32 s17, s19, 1
	s_add_co_i32 s16, s5, s10
	s_lshl_b32 s10, s8, 1
	s_lshr_b32 s4, s16, s4
	s_mul_i32 s16, s6, s26
	s_mul_i32 s4, s4, s24
	s_sub_co_i32 s33, s7, s16
	s_sub_co_i32 s4, s5, s4
	s_mul_i32 s5, s5, s25
	s_wait_kmcnt 0x0
	s_mul_i32 s4, s4, s3
	s_mul_i32 s8, s7, s27
	s_add_co_i32 s33, s33, s4
	s_sub_co_i32 s3, s6, s5
	s_lshl_b32 s16, s33, 7
	s_sub_co_i32 s24, ttmp9, s8
	v_or_b32_e32 v1, s16, v17
	s_mul_i32 s3, s3, s9
	s_and_b32 s9, s13, 0xffff
	s_add_co_i32 s24, s24, s3
	s_lshl_b32 s13, s20, 1
	v_mad_co_u64_u32 v[1:2], null, s20, v2, v[1:2]
	s_lshl_b32 s3, s24, 7
	s_mov_b32 s8, s12
	v_add3_u32 v2, v4, v17, s3
	v_dual_mov_b32 v33, 0 :: v_dual_mov_b32 v26, 0
	v_dual_mov_b32 v28, 0 :: v_dual_lshlrev_b32 v5, 1, v1
	v_add_nc_u32_e32 v4, s20, v1
	s_delay_alu instid0(VALU_DEP_4) | instskip(SKIP_2) | instid1(VALU_DEP_4)
	v_add_nc_u32_e32 v13, s19, v2
	v_dual_mov_b32 v27, 0 :: v_dual_lshlrev_b32 v12, 1, v2
	v_add_lshl_u32 v1, s13, v1, 1
	v_dual_mov_b32 v29, 0 :: v_dual_lshlrev_b32 v6, 1, v4
	v_add_lshl_u32 v8, v4, s13, 1
	v_dual_mov_b32 v35, 0 :: v_dual_lshlrev_b32 v14, 1, v13
	s_clause 0x3
	buffer_load_b64 v[4:5], v5, s[8:11], null offen
	buffer_load_b64 v[6:7], v6, s[8:11], null offen
	;; [unrolled: 1-line block ×4, first 2 shown]
	v_add_lshl_u32 v1, v13, s17, 1
	s_mov_b32 s6, s10
	s_mov_b32 s5, s9
	v_add_lshl_u32 v2, s17, v2, 1
	s_lshl_b32 s10, s22, 1
	s_and_b32 s9, s15, 0xffff
	s_mov_b32 s8, s14
	s_clause 0x3
	buffer_load_b64 v[12:13], v12, s[8:11], null offen
	buffer_load_b64 v[14:15], v14, s[8:11], null offen
	;; [unrolled: 1-line block ×4, first 2 shown]
	v_dual_mov_b32 v54, 0 :: v_dual_lshlrev_b32 v1, 1, v0
	v_dual_mov_b32 v57, 0 :: v_dual_lshlrev_b32 v2, 6, v18
	v_and_b32_e32 v0, 31, v0
	s_delay_alu instid0(VALU_DEP_3) | instskip(SKIP_3) | instid1(VALU_DEP_4)
	v_and_b32_e32 v19, 0x1f8, v1
	v_and_or_b32 v21, v1, 4, v20
	v_lshlrev_b32_e32 v17, 2, v17
	v_dual_mov_b32 v45, 0 :: v_dual_mov_b32 v52, 0
	v_sub_nc_u32_e32 v2, v19, v2
	v_dual_mov_b32 v51, 0 :: v_dual_mov_b32 v74, 0
	s_delay_alu instid0(VALU_DEP_4) | instskip(SKIP_1) | instid1(VALU_DEP_4)
	v_lshl_or_b32 v24, v3, 9, v17
	v_dual_mov_b32 v73, 0 :: v_dual_mov_b32 v60, 0
	v_and_or_b32 v20, v16, 4, v2
	v_mad_co_u64_u32 v[1:2], null, s19, v18, v[0:1]
	v_dual_mov_b32 v75, 0 :: v_dual_mov_b32 v66, 0
	v_dual_mov_b32 v77, 0 :: v_dual_mov_b32 v82, 0
	;; [unrolled: 1-line block ×3, first 2 shown]
	s_delay_alu instid0(VALU_DEP_4)
	v_mad_co_u64_u32 v[2:3], null, s20, v18, v[0:1]
	v_dual_mov_b32 v71, 0 :: v_dual_mov_b32 v76, 0
	v_dual_mov_b32 v81, 0 :: v_dual_mov_b32 v78, 0
	;; [unrolled: 1-line block ×13, first 2 shown]
	v_lshlrev_b32_e32 v22, 2, v21
	v_lshlrev_b32_e32 v23, 2, v20
	v_lshlrev_b32_e32 v18, 3, v1
	v_lshlrev_b32_e32 v19, 3, v2
	v_lshl_add_u32 v16, v1, 2, s3
	v_lshl_add_u32 v17, v2, 2, s16
	s_mov_b32 s4, s12
	s_sub_co_i32 s12, s21, 32
	s_lshl_b32 s14, s19, 6
	s_mul_i32 s25, s19, 0x84
	s_lshl_b32 s21, s19, 7
	s_mul_i32 s26, s19, 0x86
	s_mul_i32 s27, s19, 0x82
	;; [unrolled: 1-line block ×5, first 2 shown]
	s_lshl_b32 s22, s20, 6
	s_mul_i32 s34, s20, 0x84
	s_lshl_b32 s23, s20, 7
	s_mul_i32 s35, s20, 0x86
	s_mul_i32 s36, s20, 0x82
	;; [unrolled: 1-line block ×5, first 2 shown]
	s_lshl_b32 s31, s24, 8
	s_lshl_b32 s40, s33, 8
	s_mov_b32 s15, 0
	s_mov_b32 s7, s11
	s_add_co_i32 s24, s31, s25
	s_add_co_i32 s25, s31, s26
	;; [unrolled: 1-line block ×3, first 2 shown]
	s_wait_alu 0xfffe
	s_add_co_i32 s27, s31, s21
	s_add_co_i32 s28, s31, s28
	;; [unrolled: 1-line block ×13, first 2 shown]
	s_wait_loadcnt 0x6
	v_perm_b32 v3, v7, v5, 0x7060302
	v_perm_b32 v1, v6, v4, 0x7060302
	v_perm_b32 v0, v6, v4, 0x5040100
	v_perm_b32 v2, v7, v5, 0x5040100
	s_wait_loadcnt 0x4
	v_perm_b32 v7, v9, v11, 0x7060302
	v_perm_b32 v5, v8, v10, 0x7060302
	v_perm_b32 v4, v8, v10, 0x5040100
	v_perm_b32 v6, v9, v11, 0x5040100
	;; [unrolled: 5-line block ×4, first 2 shown]
	ds_store_b128 v24, v[0:3]
	ds_store_b128 v24, v[4:7] offset:512
	ds_store_b128 v24, v[8:11] offset:16384
	;; [unrolled: 1-line block ×3, first 2 shown]
.LBB1_1:                                ; =>This Inner Loop Header: Depth=1
	v_add_nc_u32_e32 v0, s40, v19
	v_add_nc_u32_e32 v1, s39, v19
	;; [unrolled: 1-line block ×8, first 2 shown]
	s_clause 0x3
	buffer_load_b64 v[12:13], v0, s[4:7], null offen
	buffer_load_b64 v[14:15], v1, s[4:7], null offen
	;; [unrolled: 1-line block ×4, first 2 shown]
	s_clause 0x3
	buffer_load_b64 v[4:5], v4, s[8:11], null offen
	buffer_load_b64 v[6:7], v6, s[8:11], null offen
	;; [unrolled: 1-line block ×4, first 2 shown]
	s_wait_dscnt 0x0
	s_barrier_signal -1
	s_barrier_wait -1
	ds_load_b128 v[99:102], v23 offset:16384
	ds_load_b128 v[103:106], v23 offset:16640
	ds_load_b128 v[107:110], v22
	ds_load_b128 v[111:114], v22 offset:256
	ds_load_b128 v[115:118], v23 offset:16896
	;; [unrolled: 1-line block ×20, first 2 shown]
	s_wait_dscnt 0x14
	v_dot2_f32_f16 v88, v107, v99, v88
	v_dot2_f32_f16 v87, v107, v100, v87
	v_dot2_f32_f16 v86, v107, v101, v86
	v_dot2_f32_f16 v85, v107, v102, v85
	v_dot2_f32_f16 v84, v108, v99, v84
	v_dot2_f32_f16 v83, v108, v100, v83
	v_dot2_f32_f16 v82, v108, v101, v82
	v_dot2_f32_f16 v81, v108, v102, v81
	v_dot2_f32_f16 v77, v109, v99, v77
	v_dot2_f32_f16 v75, v109, v100, v75
	v_dot2_f32_f16 v74, v109, v101, v74
	v_dot2_f32_f16 v73, v109, v102, v73
	v_dot2_f32_f16 v65, v110, v99, v65
	v_dot2_f32_f16 v59, v110, v100, v59
	v_dot2_f32_f16 v58, v110, v101, v58
	v_dot2_f32_f16 v55, v110, v102, v55
	v_dot2_f32_f16 v80, v107, v103, v80
	v_dot2_f32_f16 v79, v107, v104, v79
	v_dot2_f32_f16 v78, v107, v105, v78
	v_dot2_f32_f16 v76, v107, v106, v76
	v_dot2_f32_f16 v71, v108, v103, v71
	v_dot2_f32_f16 v67, v108, v104, v67
	v_dot2_f32_f16 v66, v108, v105, v66
	v_dot2_f32_f16 v60, v108, v106, v60
	v_dot2_f32_f16 v52, v109, v103, v52
	v_dot2_f32_f16 v51, v109, v104, v51
	v_dot2_f32_f16 v50, v109, v105, v50
	v_dot2_f32_f16 v45, v109, v106, v45
	v_dot2_f32_f16 v89, v110, v103, v41
	v_dot2_f32_f16 v90, v110, v104, v40
	v_dot2_f32_f16 v107, v110, v105, v39
	v_dot2_f32_f16 v108, v110, v106, v38
	s_wait_dscnt 0x13
	v_dot2_f32_f16 v109, v111, v99, v37
	v_dot2_f32_f16 v110, v111, v100, v36
	;; [unrolled: 1-line block ×28, first 2 shown]
	ds_load_b128 v[38:41], v22 offset:2816
	ds_load_b128 v[30:33], v22 offset:3072
	v_dot2_f32_f16 v200, v113, v105, v48
	v_dot2_f32_f16 v113, v113, v106, v49
	;; [unrolled: 1-line block ×4, first 2 shown]
	s_wait_dscnt 0x12
	v_dot2_f32_f16 v88, v123, v115, v88
	v_dot2_f32_f16 v87, v123, v116, v87
	;; [unrolled: 1-line block ×32, first 2 shown]
	s_wait_dscnt 0x11
	v_dot2_f32_f16 v109, v127, v115, v109
	v_dot2_f32_f16 v110, v127, v116, v110
	;; [unrolled: 1-line block ×28, first 2 shown]
	ds_load_b128 v[25:28], v23 offset:19456
	ds_load_b128 v[34:37], v23 offset:19712
	;; [unrolled: 1-line block ×4, first 2 shown]
	v_dot2_f32_f16 v118, v129, v121, v200
	v_dot2_f32_f16 v113, v129, v122, v113
	;; [unrolled: 1-line block ×4, first 2 shown]
	s_wait_dscnt 0x12
	v_dot2_f32_f16 v88, v139, v131, v88
	v_dot2_f32_f16 v87, v139, v132, v87
	;; [unrolled: 1-line block ×32, first 2 shown]
	s_wait_dscnt 0x11
	v_dot2_f32_f16 v109, v143, v131, v109
	v_dot2_f32_f16 v110, v143, v132, v110
	v_dot2_f32_f16 v123, v143, v133, v123
	v_dot2_f32_f16 v124, v143, v134, v124
	v_dot2_f32_f16 v125, v144, v131, v125
	v_dot2_f32_f16 v126, v144, v132, v126
	v_dot2_f32_f16 v141, v144, v133, v191
	v_dot2_f32_f16 v142, v144, v134, v192
	v_dot2_f32_f16 v191, v145, v131, v193
	v_dot2_f32_f16 v192, v145, v132, v62
	v_dot2_f32_f16 v193, v145, v133, v63
	v_dot2_f32_f16 v196, v145, v134, v64
	v_dot2_f32_f16 v131, v146, v131, v68
	v_dot2_f32_f16 v132, v146, v132, v69
	v_dot2_f32_f16 v133, v146, v133, v70
	v_dot2_f32_f16 v134, v146, v134, v72
	v_dot2_f32_f16 v29, v143, v135, v29
	v_dot2_f32_f16 v99, v143, v136, v99
	v_dot2_f32_f16 v100, v143, v137, v100
	v_dot2_f32_f16 v101, v143, v138, v101
	v_dot2_f32_f16 v102, v144, v135, v102
	v_dot2_f32_f16 v111, v144, v136, v111
	v_dot2_f32_f16 v115, v144, v137, v115
	v_dot2_f32_f16 v112, v144, v138, v112
	v_dot2_f32_f16 v116, v145, v135, v116
	v_dot2_f32_f16 v117, v145, v136, v117
	v_dot2_f32_f16 v119, v146, v135, v119
	v_dot2_f32_f16 v120, v146, v136, v120
	ds_load_b128 v[50:53], v23 offset:19968
	ds_load_b128 v[54:57], v23 offset:20224
	;; [unrolled: 1-line block ×4, first 2 shown]
	v_dot2_f32_f16 v118, v145, v137, v118
	v_dot2_f32_f16 v113, v145, v138, v113
	;; [unrolled: 1-line block ×4, first 2 shown]
	s_wait_dscnt 0x12
	v_dot2_f32_f16 v135, v155, v147, v88
	v_dot2_f32_f16 v136, v155, v148, v87
	;; [unrolled: 1-line block ×32, first 2 shown]
	s_wait_dscnt 0x11
	v_dot2_f32_f16 v109, v159, v147, v109
	v_dot2_f32_f16 v110, v159, v148, v110
	;; [unrolled: 1-line block ×28, first 2 shown]
	ds_load_b128 v[66:69], v23 offset:20480
	ds_load_b128 v[70:73], v23 offset:20736
	;; [unrolled: 1-line block ×4, first 2 shown]
	v_dot2_f32_f16 v118, v161, v153, v118
	v_dot2_f32_f16 v113, v161, v154, v113
	;; [unrolled: 1-line block ×4, first 2 shown]
	s_wait_dscnt 0x12
	v_dot2_f32_f16 v135, v171, v163, v135
	v_dot2_f32_f16 v136, v171, v164, v136
	;; [unrolled: 1-line block ×32, first 2 shown]
	s_wait_dscnt 0x11
	v_dot2_f32_f16 v196, v175, v163, v109
	v_dot2_f32_f16 v197, v175, v164, v110
	;; [unrolled: 1-line block ×28, first 2 shown]
	ds_load_b128 v[82:85], v23 offset:20992
	ds_load_b128 v[86:89], v23 offset:21248
	;; [unrolled: 1-line block ×4, first 2 shown]
	v_dot2_f32_f16 v176, v177, v169, v118
	v_dot2_f32_f16 v177, v177, v170, v113
	v_dot2_f32_f16 v169, v178, v169, v121
	v_dot2_f32_f16 v170, v178, v170, v122
	s_wait_dscnt 0x13
	v_dot2_f32_f16 v135, v179, v183, v135
	v_dot2_f32_f16 v136, v179, v184, v136
	v_dot2_f32_f16 v137, v179, v185, v137
	v_dot2_f32_f16 v138, v179, v186, v138
	v_dot2_f32_f16 v143, v180, v183, v143
	v_dot2_f32_f16 v144, v180, v184, v144
	v_dot2_f32_f16 v145, v180, v185, v145
	v_dot2_f32_f16 v146, v180, v186, v146
	v_dot2_f32_f16 v151, v181, v183, v151
	v_dot2_f32_f16 v152, v181, v184, v152
	v_dot2_f32_f16 v153, v181, v185, v153
	v_dot2_f32_f16 v127, v181, v186, v127
	v_dot2_f32_f16 v128, v182, v183, v128
	v_dot2_f32_f16 v129, v182, v184, v129
	v_dot2_f32_f16 v130, v182, v185, v130
	v_dot2_f32_f16 v154, v182, v186, v154
	s_wait_dscnt 0x12
	v_dot2_f32_f16 v159, v179, v187, v159
	v_dot2_f32_f16 v160, v179, v188, v160
	v_dot2_f32_f16 v161, v179, v189, v161
	v_dot2_f32_f16 v155, v179, v190, v155
	v_dot2_f32_f16 v139, v180, v187, v139
	v_dot2_f32_f16 v162, v180, v188, v162
	v_dot2_f32_f16 v171, v180, v189, v171
	v_dot2_f32_f16 v140, v180, v190, v140
	v_dot2_f32_f16 v172, v181, v187, v172
	v_dot2_f32_f16 v178, v181, v188, v193
	v_dot2_f32_f16 v179, v181, v189, v194
	v_dot2_f32_f16 v173, v181, v190, v173
	;; [unrolled: 17-line block ×3, first 2 shown]
	v_dot2_f32_f16 v131, v41, v183, v131
	v_dot2_f32_f16 v132, v41, v184, v132
	;; [unrolled: 1-line block ×16, first 2 shown]
	ds_load_b128 v[107:110], v23 offset:21504
	ds_load_b128 v[111:114], v23 offset:21760
	;; [unrolled: 1-line block ×4, first 2 shown]
	v_dot2_f32_f16 v176, v40, v189, v176
	v_dot2_f32_f16 v177, v40, v190, v177
	v_dot2_f32_f16 v169, v41, v189, v169
	v_dot2_f32_f16 v170, v41, v190, v170
	s_wait_dscnt 0x13
	v_dot2_f32_f16 v135, v30, v25, v135
	v_dot2_f32_f16 v136, v30, v26, v136
	v_dot2_f32_f16 v137, v30, v27, v137
	v_dot2_f32_f16 v138, v30, v28, v138
	v_dot2_f32_f16 v143, v31, v25, v143
	v_dot2_f32_f16 v144, v31, v26, v144
	v_dot2_f32_f16 v145, v31, v27, v145
	v_dot2_f32_f16 v146, v31, v28, v146
	v_dot2_f32_f16 v151, v32, v25, v151
	v_dot2_f32_f16 v152, v32, v26, v152
	v_dot2_f32_f16 v153, v32, v27, v153
	v_dot2_f32_f16 v127, v32, v28, v127
	v_dot2_f32_f16 v128, v33, v25, v128
	v_dot2_f32_f16 v129, v33, v26, v129
	v_dot2_f32_f16 v130, v33, v27, v130
	v_dot2_f32_f16 v154, v33, v28, v154
	s_wait_dscnt 0x12
	v_dot2_f32_f16 v159, v30, v34, v159
	v_dot2_f32_f16 v160, v30, v35, v160
	v_dot2_f32_f16 v161, v30, v36, v161
	v_dot2_f32_f16 v155, v30, v37, v155
	v_dot2_f32_f16 v139, v31, v34, v139
	v_dot2_f32_f16 v162, v31, v35, v162
	v_dot2_f32_f16 v171, v31, v36, v171
	v_dot2_f32_f16 v140, v31, v37, v140
	v_dot2_f32_f16 v172, v32, v34, v172
	v_dot2_f32_f16 v178, v32, v35, v178
	v_dot2_f32_f16 v179, v32, v36, v179
	v_dot2_f32_f16 v173, v32, v37, v173
	;; [unrolled: 17-line block ×3, first 2 shown]
	v_dot2_f32_f16 v131, v45, v25, v131
	v_dot2_f32_f16 v132, v45, v26, v132
	;; [unrolled: 1-line block ×20, first 2 shown]
	s_wait_dscnt 0xf
	v_dot2_f32_f16 v135, v46, v50, v135
	v_dot2_f32_f16 v136, v46, v51, v136
	v_dot2_f32_f16 v137, v46, v52, v137
	v_dot2_f32_f16 v138, v46, v53, v138
	v_dot2_f32_f16 v143, v47, v50, v143
	v_dot2_f32_f16 v144, v47, v51, v144
	v_dot2_f32_f16 v145, v47, v52, v145
	v_dot2_f32_f16 v146, v47, v53, v146
	v_dot2_f32_f16 v151, v48, v50, v151
	v_dot2_f32_f16 v152, v48, v51, v152
	v_dot2_f32_f16 v153, v48, v52, v153
	v_dot2_f32_f16 v127, v48, v53, v127
	v_dot2_f32_f16 v128, v49, v50, v128
	v_dot2_f32_f16 v129, v49, v51, v129
	v_dot2_f32_f16 v130, v49, v52, v130
	v_dot2_f32_f16 v154, v49, v53, v154
	s_wait_dscnt 0xe
	v_dot2_f32_f16 v159, v46, v54, v159
	v_dot2_f32_f16 v160, v46, v55, v160
	v_dot2_f32_f16 v161, v46, v56, v161
	v_dot2_f32_f16 v155, v46, v57, v155
	v_dot2_f32_f16 v139, v47, v54, v139
	v_dot2_f32_f16 v162, v47, v55, v162
	v_dot2_f32_f16 v170, v47, v56, v171
	v_dot2_f32_f16 v140, v47, v57, v140
	v_dot2_f32_f16 v171, v48, v54, v172
	v_dot2_f32_f16 v172, v48, v55, v178
	v_dot2_f32_f16 v178, v48, v56, v179
	v_dot2_f32_f16 v173, v48, v57, v173
	v_dot2_f32_f16 v156, v49, v54, v156
	v_dot2_f32_f16 v90, v49, v55, v90
	v_dot2_f32_f16 v179, v49, v56, v180
	v_dot2_f32_f16 v174, v49, v57, v174
	;; [unrolled: 17-line block ×3, first 2 shown]
	v_dot2_f32_f16 v183, v58, v54, v183
	v_dot2_f32_f16 v147, v58, v55, v147
	v_dot2_f32_f16 v148, v58, v56, v148
	v_dot2_f32_f16 v149, v58, v57, v149
	v_dot2_f32_f16 v150, v59, v54, v150
	v_dot2_f32_f16 v163, v59, v55, v163
	v_dot2_f32_f16 v164, v59, v56, v164
	v_dot2_f32_f16 v165, v59, v57, v165
	v_dot2_f32_f16 v166, v60, v54, v166
	v_dot2_f32_f16 v175, v60, v55, v175
	v_dot2_f32_f16 v167, v61, v54, v167
	v_dot2_f32_f16 v168, v61, v55, v168
	v_dot2_f32_f16 v176, v60, v56, v176
	v_dot2_f32_f16 v177, v60, v57, v177
	v_dot2_f32_f16 v169, v61, v56, v169
	v_dot2_f32_f16 v37, v61, v57, v37
	s_wait_dscnt 0xb
	v_dot2_f32_f16 v135, v62, v66, v135
	v_dot2_f32_f16 v136, v62, v67, v136
	v_dot2_f32_f16 v137, v62, v68, v137
	v_dot2_f32_f16 v138, v62, v69, v138
	v_dot2_f32_f16 v143, v63, v66, v143
	v_dot2_f32_f16 v144, v63, v67, v144
	v_dot2_f32_f16 v145, v63, v68, v145
	v_dot2_f32_f16 v146, v63, v69, v146
	v_dot2_f32_f16 v151, v64, v66, v151
	v_dot2_f32_f16 v152, v64, v67, v152
	v_dot2_f32_f16 v153, v64, v68, v153
	v_dot2_f32_f16 v127, v64, v69, v127
	v_dot2_f32_f16 v128, v65, v66, v128
	v_dot2_f32_f16 v129, v65, v67, v129
	v_dot2_f32_f16 v130, v65, v68, v130
	v_dot2_f32_f16 v154, v65, v69, v154
	s_wait_dscnt 0xa
	;; [unrolled: 17-line block ×3, first 2 shown]
	v_dot2_f32_f16 v180, v74, v66, v180
	v_dot2_f32_f16 v181, v74, v67, v181
	;; [unrolled: 1-line block ×28, first 2 shown]
	v_add_nc_u32_e32 v97, s36, v19
	v_add_nc_u32_e32 v91, s35, v19
	;; [unrolled: 1-line block ×3, first 2 shown]
	v_dot2_f32_f16 v176, v76, v72, v176
	v_dot2_f32_f16 v177, v76, v73, v177
	v_dot2_f32_f16 v169, v77, v72, v169
	v_dot2_f32_f16 v37, v77, v73, v37
	s_wait_dscnt 0x7
	v_dot2_f32_f16 v135, v78, v82, v135
	v_dot2_f32_f16 v136, v78, v83, v136
	v_dot2_f32_f16 v137, v78, v84, v137
	v_dot2_f32_f16 v138, v78, v85, v138
	v_dot2_f32_f16 v143, v79, v82, v143
	v_dot2_f32_f16 v144, v79, v83, v144
	v_dot2_f32_f16 v145, v79, v84, v145
	v_dot2_f32_f16 v146, v79, v85, v146
	v_dot2_f32_f16 v151, v80, v82, v151
	v_dot2_f32_f16 v152, v80, v83, v152
	v_dot2_f32_f16 v153, v80, v84, v153
	v_dot2_f32_f16 v127, v80, v85, v127
	v_dot2_f32_f16 v128, v81, v82, v128
	v_dot2_f32_f16 v129, v81, v83, v129
	v_dot2_f32_f16 v130, v81, v84, v130
	v_dot2_f32_f16 v154, v81, v85, v154
	s_wait_dscnt 0x6
	v_dot2_f32_f16 v159, v78, v86, v159
	v_dot2_f32_f16 v160, v78, v87, v160
	v_dot2_f32_f16 v161, v78, v88, v161
	v_dot2_f32_f16 v155, v78, v89, v155
	v_dot2_f32_f16 v139, v79, v86, v139
	v_dot2_f32_f16 v162, v79, v87, v162
	v_dot2_f32_f16 v170, v79, v88, v170
	v_dot2_f32_f16 v140, v79, v89, v140
	v_dot2_f32_f16 v171, v80, v86, v171
	v_dot2_f32_f16 v172, v80, v87, v172
	v_dot2_f32_f16 v178, v80, v88, v178
	v_dot2_f32_f16 v173, v80, v89, v173
	;; [unrolled: 17-line block ×3, first 2 shown]
	v_dot2_f32_f16 v131, v102, v82, v131
	v_dot2_f32_f16 v132, v102, v83, v132
	v_dot2_f32_f16 v133, v102, v84, v133
	v_dot2_f32_f16 v134, v102, v85, v134
	v_dot2_f32_f16 v183, v99, v86, v183
	v_dot2_f32_f16 v147, v99, v87, v147
	v_dot2_f32_f16 v148, v99, v88, v148
	v_dot2_f32_f16 v149, v99, v89, v149
	v_dot2_f32_f16 v150, v100, v86, v150
	v_dot2_f32_f16 v163, v100, v87, v163
	v_dot2_f32_f16 v164, v100, v88, v164
	v_dot2_f32_f16 v165, v100, v89, v165
	v_dot2_f32_f16 v166, v101, v86, v166
	v_dot2_f32_f16 v175, v101, v87, v175
	v_dot2_f32_f16 v167, v102, v86, v167
	v_dot2_f32_f16 v168, v102, v87, v168
	v_add_nc_u32_e32 v93, s34, v19
	v_add_nc_u32_e32 v95, s25, v18
	;; [unrolled: 1-line block ×5, first 2 shown]
	ds_load_b128 v[38:41], v23 offset:22016
	ds_load_b128 v[123:126], v23 offset:22272
	;; [unrolled: 1-line block ×16, first 2 shown]
	v_dot2_f32_f16 v176, v101, v88, v176
	v_dot2_f32_f16 v177, v101, v89, v177
	;; [unrolled: 1-line block ×4, first 2 shown]
	ds_load_b128 v[86:89], v23 offset:24064
	ds_load_b128 v[99:102], v23 offset:24320
	s_wait_dscnt 0x15
	v_dot2_f32_f16 v135, v103, v107, v135
	v_dot2_f32_f16 v136, v103, v108, v136
	;; [unrolled: 1-line block ×16, first 2 shown]
	s_wait_dscnt 0x14
	v_dot2_f32_f16 v159, v103, v111, v159
	v_dot2_f32_f16 v160, v103, v112, v160
	;; [unrolled: 1-line block ×16, first 2 shown]
	ds_load_b128 v[103:106], v22 offset:7936
	buffer_load_b64 v[127:128], v97, s[4:7], null offen
	s_wait_dscnt 0x14
	v_dot2_f32_f16 v180, v115, v107, v180
	v_dot2_f32_f16 v181, v115, v108, v181
	;; [unrolled: 1-line block ×16, first 2 shown]
	s_clause 0x2
	buffer_load_b64 v[90:91], v91, s[4:7], null offen
	buffer_load_b64 v[107:108], v93, s[4:7], null offen
	;; [unrolled: 1-line block ×4, first 2 shown]
	v_dot2_f32_f16 v183, v115, v111, v183
	v_dot2_f32_f16 v147, v115, v112, v147
	;; [unrolled: 1-line block ×12, first 2 shown]
	s_clause 0x2
	buffer_load_b64 v[109:110], v92, s[8:11], null offen
	buffer_load_b64 v[111:112], v95, s[8:11], null offen
	buffer_load_b64 v[95:96], v96, s[8:11], null offen
	v_dot2_f32_f16 v166, v117, v113, v176
	v_dot2_f32_f16 v117, v117, v114, v177
	v_dot2_f32_f16 v113, v118, v113, v169
	v_dot2_f32_f16 v37, v118, v114, v37
	s_wait_dscnt 0x12
	v_dot2_f32_f16 v92, v119, v38, v135
	v_dot2_f32_f16 v114, v119, v39, v136
	v_dot2_f32_f16 v118, v119, v40, v137
	v_dot2_f32_f16 v135, v119, v41, v138
	v_dot2_f32_f16 v136, v120, v38, v143
	v_dot2_f32_f16 v137, v120, v39, v144
	v_dot2_f32_f16 v138, v120, v40, v145
	v_dot2_f32_f16 v143, v120, v41, v146
	v_dot2_f32_f16 v144, v121, v38, v151
	v_dot2_f32_f16 v145, v121, v39, v152
	v_dot2_f32_f16 v146, v121, v40, v153
	v_dot2_f32_f16 v151, v121, v41, v189
	v_dot2_f32_f16 v152, v122, v38, v190
	v_dot2_f32_f16 v129, v122, v39, v129
	v_dot2_f32_f16 v130, v122, v40, v130
	v_dot2_f32_f16 v153, v122, v41, v154
	s_wait_dscnt 0x11
	v_dot2_f32_f16 v154, v119, v123, v159
	v_dot2_f32_f16 v159, v119, v124, v160
	v_dot2_f32_f16 v160, v119, v125, v161
	v_dot2_f32_f16 v119, v119, v126, v155
	v_dot2_f32_f16 v139, v120, v123, v139
	v_dot2_f32_f16 v155, v120, v124, v162
	v_dot2_f32_f16 v161, v120, v125, v170
	v_dot2_f32_f16 v120, v120, v126, v140
	v_dot2_f32_f16 v140, v121, v123, v171
	v_dot2_f32_f16 v162, v121, v124, v172
	v_dot2_f32_f16 v169, v121, v125, v178
	v_dot2_f32_f16 v121, v121, v126, v173
	;; [unrolled: 17-line block ×3, first 2 shown]
	v_dot2_f32_f16 v38, v32, v38, v131
	v_dot2_f32_f16 v39, v32, v39, v132
	;; [unrolled: 1-line block ×20, first 2 shown]
	s_wait_dscnt 0xe
	v_dot2_f32_f16 v37, v25, v33, v92
	v_dot2_f32_f16 v92, v25, v34, v114
	v_dot2_f32_f16 v114, v25, v35, v118
	v_dot2_f32_f16 v118, v25, v36, v135
	v_dot2_f32_f16 v124, v26, v33, v136
	v_dot2_f32_f16 v125, v26, v34, v137
	v_dot2_f32_f16 v126, v26, v35, v138
	v_dot2_f32_f16 v135, v26, v36, v143
	v_dot2_f32_f16 v136, v27, v33, v144
	v_dot2_f32_f16 v137, v27, v34, v145
	v_dot2_f32_f16 v138, v27, v35, v146
	v_dot2_f32_f16 v143, v27, v36, v151
	v_dot2_f32_f16 v144, v28, v33, v152
	v_dot2_f32_f16 v129, v28, v34, v129
	v_dot2_f32_f16 v130, v28, v35, v130
	v_dot2_f32_f16 v145, v28, v36, v153
	s_wait_dscnt 0xd
	v_dot2_f32_f16 v146, v25, v42, v154
	v_dot2_f32_f16 v150, v25, v43, v159
	v_dot2_f32_f16 v151, v25, v44, v160
	v_dot2_f32_f16 v25, v25, v45, v119
	v_dot2_f32_f16 v119, v26, v42, v139
	v_dot2_f32_f16 v139, v26, v43, v155
	v_dot2_f32_f16 v152, v26, v44, v161
	v_dot2_f32_f16 v26, v26, v45, v120
	v_dot2_f32_f16 v120, v27, v42, v140
	v_dot2_f32_f16 v140, v27, v43, v162
	v_dot2_f32_f16 v153, v27, v44, v169
	v_dot2_f32_f16 v27, v27, v45, v121
	v_dot2_f32_f16 v121, v28, v42, v156
	v_dot2_f32_f16 v154, v28, v43, v170
	v_dot2_f32_f16 v155, v28, v44, v171
	v_dot2_f32_f16 v28, v28, v45, v122
	;; [unrolled: 17-line block ×3, first 2 shown]
	v_dot2_f32_f16 v38, v46, v42, v131
	v_dot2_f32_f16 v39, v46, v43, v132
	v_dot2_f32_f16 v40, v46, v44, v133
	v_dot2_f32_f16 v29, v46, v45, v29
	v_dot2_f32_f16 v41, v47, v42, v115
	v_dot2_f32_f16 v46, v47, v43, v134
	v_dot2_f32_f16 v115, v47, v44, v147
	v_dot2_f32_f16 v30, v47, v45, v30
	v_dot2_f32_f16 v47, v48, v42, v116
	v_dot2_f32_f16 v116, v48, v43, v148
	v_dot2_f32_f16 v131, v48, v44, v149
	v_dot2_f32_f16 v31, v48, v45, v31
	v_dot2_f32_f16 v42, v49, v42, v117
	v_dot2_f32_f16 v43, v49, v43, v123
	v_dot2_f32_f16 v44, v49, v44, v113
	v_dot2_f32_f16 v32, v49, v45, v32
	s_wait_dscnt 0xa
	v_dot2_f32_f16 v37, v50, v54, v37
	v_dot2_f32_f16 v45, v50, v55, v92
	v_dot2_f32_f16 v48, v50, v56, v114
	v_dot2_f32_f16 v49, v50, v57, v118
	v_dot2_f32_f16 v92, v51, v54, v124
	v_dot2_f32_f16 v113, v51, v55, v125
	v_dot2_f32_f16 v114, v51, v56, v126
	v_dot2_f32_f16 v117, v51, v57, v135
	v_dot2_f32_f16 v118, v52, v54, v136
	v_dot2_f32_f16 v123, v52, v55, v137
	v_dot2_f32_f16 v124, v52, v56, v138
	v_dot2_f32_f16 v125, v52, v57, v143
	v_dot2_f32_f16 v126, v53, v54, v144
	v_dot2_f32_f16 v129, v53, v55, v129
	v_dot2_f32_f16 v130, v53, v56, v130
	v_dot2_f32_f16 v132, v53, v57, v145
	s_wait_dscnt 0x9
	v_dot2_f32_f16 v133, v50, v58, v146
	v_dot2_f32_f16 v134, v50, v59, v150
	v_dot2_f32_f16 v135, v50, v60, v151
	v_dot2_f32_f16 v25, v50, v61, v25
	v_dot2_f32_f16 v50, v51, v58, v119
	v_dot2_f32_f16 v119, v51, v59, v139
	v_dot2_f32_f16 v136, v51, v60, v152
	v_dot2_f32_f16 v26, v51, v61, v26
	v_dot2_f32_f16 v51, v52, v58, v120
	v_dot2_f32_f16 v120, v52, v59, v140
	v_dot2_f32_f16 v137, v52, v60, v153
	v_dot2_f32_f16 v27, v52, v61, v27
	v_dot2_f32_f16 v52, v53, v58, v121
	v_dot2_f32_f16 v121, v53, v59, v154
	v_dot2_f32_f16 v138, v53, v60, v155
	v_dot2_f32_f16 v28, v53, v61, v28
	s_wait_dscnt 0x8
	v_dot2_f32_f16 v53, v62, v54, v122
	v_dot2_f32_f16 v122, v62, v55, v156
	;; [unrolled: 1-line block ×32, first 2 shown]
	s_wait_dscnt 0x6
	v_dot2_f32_f16 v37, v66, v70, v37
	v_dot2_f32_f16 v45, v66, v71, v45
	v_dot2_f32_f16 v48, v66, v72, v48
	v_dot2_f32_f16 v49, v66, v73, v49
	v_dot2_f32_f16 v57, v67, v70, v92
	v_dot2_f32_f16 v58, v67, v71, v113
	v_dot2_f32_f16 v59, v67, v72, v114
	v_dot2_f32_f16 v60, v67, v73, v117
	v_dot2_f32_f16 v61, v68, v70, v118
	v_dot2_f32_f16 v62, v68, v71, v123
	v_dot2_f32_f16 v63, v68, v72, v124
	v_dot2_f32_f16 v64, v68, v73, v125
	v_dot2_f32_f16 v65, v69, v70, v126
	v_dot2_f32_f16 v92, v69, v71, v129
	v_dot2_f32_f16 v113, v69, v72, v130
	v_dot2_f32_f16 v114, v69, v73, v132
	s_wait_dscnt 0x5
	v_dot2_f32_f16 v115, v66, v74, v133
	v_dot2_f32_f16 v116, v66, v75, v134
	v_dot2_f32_f16 v117, v66, v76, v135
	v_dot2_f32_f16 v25, v66, v77, v25
	v_dot2_f32_f16 v50, v67, v74, v50
	v_dot2_f32_f16 v66, v67, v75, v119
	v_dot2_f32_f16 v118, v67, v76, v136
	v_dot2_f32_f16 v26, v67, v77, v26
	v_dot2_f32_f16 v51, v68, v74, v51
	v_dot2_f32_f16 v67, v68, v75, v120
	v_dot2_f32_f16 v119, v68, v76, v137
	v_dot2_f32_f16 v27, v68, v77, v27
	v_dot2_f32_f16 v52, v69, v74, v52
	v_dot2_f32_f16 v68, v69, v75, v121
	v_dot2_f32_f16 v120, v69, v76, v138
	v_dot2_f32_f16 v28, v69, v77, v28
	;; [unrolled: 17-line block ×3, first 2 shown]
	v_dot2_f32_f16 v38, v78, v74, v38
	v_dot2_f32_f16 v39, v78, v75, v39
	v_dot2_f32_f16 v40, v78, v76, v40
	v_dot2_f32_f16 v29, v78, v77, v29
	v_dot2_f32_f16 v41, v79, v74, v41
	v_dot2_f32_f16 v46, v79, v75, v46
	v_dot2_f32_f16 v54, v79, v76, v54
	v_dot2_f32_f16 v30, v79, v77, v30
	v_dot2_f32_f16 v47, v80, v74, v47
	v_dot2_f32_f16 v55, v80, v75, v55
	v_dot2_f32_f16 v56, v80, v76, v56
	v_dot2_f32_f16 v31, v80, v77, v31
	v_dot2_f32_f16 v42, v81, v74, v42
	v_dot2_f32_f16 v43, v81, v75, v43
	v_dot2_f32_f16 v44, v81, v76, v44
	v_dot2_f32_f16 v32, v81, v77, v32
	s_wait_dscnt 0x2
	v_dot2_f32_f16 v133, v82, v86, v37
	v_dot2_f32_f16 v134, v82, v87, v45
	v_dot2_f32_f16 v135, v82, v88, v48
	v_dot2_f32_f16 v136, v82, v89, v49
	v_dot2_f32_f16 v137, v83, v86, v57
	v_dot2_f32_f16 v138, v83, v87, v58
	v_dot2_f32_f16 v139, v83, v88, v59
	v_dot2_f32_f16 v140, v83, v89, v60
	v_dot2_f32_f16 v141, v84, v86, v61
	v_dot2_f32_f16 v142, v84, v87, v62
	v_dot2_f32_f16 v143, v84, v88, v63
	v_dot2_f32_f16 v144, v84, v89, v64
	v_dot2_f32_f16 v145, v85, v86, v65
	v_dot2_f32_f16 v146, v85, v87, v92
	v_dot2_f32_f16 v147, v85, v88, v113
	v_dot2_f32_f16 v148, v85, v89, v114
	s_wait_dscnt 0x1
	;; [unrolled: 17-line block ×3, first 2 shown]
	v_dot2_f32_f16 v165, v103, v86, v53
	v_dot2_f32_f16 v166, v103, v87, v69
	;; [unrolled: 1-line block ×32, first 2 shown]
	s_wait_loadcnt 0xe
	v_perm_b32 v28, v15, v13, 0x7060302
	v_perm_b32 v26, v14, v12, 0x7060302
	v_perm_b32 v25, v14, v12, 0x5040100
	v_perm_b32 v27, v15, v13, 0x5040100
	s_wait_loadcnt 0xc
	v_perm_b32 v32, v9, v11, 0x7060302
	v_perm_b32 v30, v8, v10, 0x7060302
	v_perm_b32 v29, v8, v10, 0x5040100
	v_perm_b32 v31, v9, v11, 0x5040100
	;; [unrolled: 5-line block ×8, first 2 shown]
	ds_store_b128 v24, v[25:28] offset:8192
	ds_store_b128 v24, v[29:32] offset:8704
	;; [unrolled: 1-line block ×4, first 2 shown]
	s_wait_dscnt 0x0
	s_barrier_signal -1
	s_barrier_wait -1
	ds_load_b128 v[25:28], v23 offset:24576
	ds_load_b128 v[29:32], v23 offset:24832
	;; [unrolled: 1-line block ×25, first 2 shown]
	s_wait_dscnt 0x16
	v_dot2_f32_f16 v127, v33, v25, v133
	v_dot2_f32_f16 v128, v33, v26, v134
	v_dot2_f32_f16 v133, v33, v27, v135
	v_dot2_f32_f16 v134, v33, v28, v136
	v_dot2_f32_f16 v135, v34, v25, v137
	v_dot2_f32_f16 v136, v34, v26, v138
	v_dot2_f32_f16 v137, v34, v27, v139
	v_dot2_f32_f16 v138, v34, v28, v140
	v_dot2_f32_f16 v139, v35, v25, v141
	v_dot2_f32_f16 v140, v35, v26, v142
	v_dot2_f32_f16 v141, v35, v27, v143
	v_dot2_f32_f16 v142, v35, v28, v144
	v_dot2_f32_f16 v143, v36, v25, v145
	v_dot2_f32_f16 v144, v36, v26, v146
	v_dot2_f32_f16 v145, v36, v27, v147
	v_dot2_f32_f16 v146, v36, v28, v148
	v_dot2_f32_f16 v147, v33, v29, v149
	v_dot2_f32_f16 v148, v33, v30, v150
	v_dot2_f32_f16 v149, v33, v31, v151
	v_dot2_f32_f16 v150, v33, v32, v152
	v_dot2_f32_f16 v151, v34, v29, v153
	v_dot2_f32_f16 v152, v34, v30, v154
	v_dot2_f32_f16 v153, v34, v31, v155
	v_dot2_f32_f16 v154, v34, v32, v156
	v_dot2_f32_f16 v155, v35, v29, v157
	v_dot2_f32_f16 v156, v35, v30, v158
	v_dot2_f32_f16 v157, v35, v31, v159
	v_dot2_f32_f16 v158, v35, v32, v160
	v_dot2_f32_f16 v159, v36, v29, v161
	v_dot2_f32_f16 v160, v36, v30, v162
	v_dot2_f32_f16 v161, v36, v31, v163
	v_dot2_f32_f16 v162, v36, v32, v164
	s_wait_dscnt 0x15
	v_dot2_f32_f16 v163, v37, v25, v165
	v_dot2_f32_f16 v164, v37, v26, v166
	v_dot2_f32_f16 v165, v37, v27, v167
	v_dot2_f32_f16 v166, v37, v28, v168
	v_dot2_f32_f16 v167, v38, v25, v169
	v_dot2_f32_f16 v168, v38, v26, v170
	v_dot2_f32_f16 v125, v38, v27, v125
	v_dot2_f32_f16 v126, v38, v28, v126
	v_dot2_f32_f16 v129, v39, v25, v129
	v_dot2_f32_f16 v130, v39, v26, v130
	v_dot2_f32_f16 v131, v39, v27, v131
	v_dot2_f32_f16 v132, v39, v28, v132
	v_dot2_f32_f16 v169, v40, v25, v171
	v_dot2_f32_f16 v170, v40, v26, v172
	v_dot2_f32_f16 v171, v40, v27, v173
	v_dot2_f32_f16 v172, v40, v28, v174
	v_dot2_f32_f16 v173, v37, v29, v175
	v_dot2_f32_f16 v174, v37, v30, v176
	v_dot2_f32_f16 v175, v37, v31, v177
	v_dot2_f32_f16 v176, v37, v32, v178
	v_dot2_f32_f16 v177, v38, v29, v179
	v_dot2_f32_f16 v178, v38, v30, v180
	v_dot2_f32_f16 v179, v38, v31, v181
	v_dot2_f32_f16 v180, v38, v32, v182
	v_dot2_f32_f16 v181, v39, v29, v183
	v_dot2_f32_f16 v182, v39, v30, v184
	v_dot2_f32_f16 v183, v39, v31, v185
	v_dot2_f32_f16 v184, v39, v32, v186
	v_dot2_f32_f16 v185, v40, v29, v187
	v_dot2_f32_f16 v186, v40, v30, v188
	v_dot2_f32_f16 v187, v40, v31, v189
	v_dot2_f32_f16 v188, v40, v32, v190
	;; [unrolled: 33-line block ×4, first 2 shown]
	ds_load_b128 v[33:36], v23 offset:27648
	ds_load_b128 v[25:28], v23 offset:27904
	s_wait_dscnt 0x10
	v_dot2_f32_f16 v127, v65, v57, v127
	v_dot2_f32_f16 v128, v65, v58, v128
	v_dot2_f32_f16 v133, v65, v59, v133
	v_dot2_f32_f16 v134, v65, v60, v134
	v_dot2_f32_f16 v135, v66, v57, v135
	v_dot2_f32_f16 v136, v66, v58, v136
	v_dot2_f32_f16 v137, v66, v59, v137
	v_dot2_f32_f16 v138, v66, v60, v138
	v_dot2_f32_f16 v139, v67, v57, v139
	v_dot2_f32_f16 v140, v67, v58, v140
	v_dot2_f32_f16 v141, v67, v59, v141
	v_dot2_f32_f16 v142, v67, v60, v142
	v_dot2_f32_f16 v143, v68, v57, v143
	v_dot2_f32_f16 v144, v68, v58, v144
	v_dot2_f32_f16 v145, v68, v59, v145
	v_dot2_f32_f16 v146, v68, v60, v146
	v_dot2_f32_f16 v147, v65, v61, v147
	v_dot2_f32_f16 v148, v65, v62, v148
	v_dot2_f32_f16 v149, v65, v63, v149
	v_dot2_f32_f16 v150, v65, v64, v150
	v_dot2_f32_f16 v151, v66, v61, v151
	v_dot2_f32_f16 v152, v66, v62, v152
	v_dot2_f32_f16 v153, v66, v63, v153
	v_dot2_f32_f16 v154, v66, v64, v154
	v_dot2_f32_f16 v155, v67, v61, v155
	v_dot2_f32_f16 v156, v67, v62, v156
	v_dot2_f32_f16 v157, v67, v63, v157
	v_dot2_f32_f16 v158, v67, v64, v158
	v_dot2_f32_f16 v159, v68, v61, v159
	v_dot2_f32_f16 v160, v68, v62, v160
	v_dot2_f32_f16 v161, v68, v63, v161
	v_dot2_f32_f16 v162, v68, v64, v162
	s_wait_dscnt 0xf
	v_dot2_f32_f16 v163, v69, v57, v163
	v_dot2_f32_f16 v164, v69, v58, v164
	;; [unrolled: 1-line block ×32, first 2 shown]
	ds_load_b128 v[29:32], v22 offset:11520
	ds_load_b128 v[37:40], v22 offset:11776
	;; [unrolled: 1-line block ×4, first 2 shown]
	s_wait_dscnt 0x10
	v_dot2_f32_f16 v127, v81, v73, v127
	v_dot2_f32_f16 v128, v81, v74, v128
	;; [unrolled: 1-line block ×32, first 2 shown]
	s_wait_dscnt 0xf
	v_dot2_f32_f16 v163, v85, v73, v163
	v_dot2_f32_f16 v164, v85, v74, v164
	;; [unrolled: 1-line block ×32, first 2 shown]
	ds_load_b128 v[45:48], v22 offset:12032
	ds_load_b128 v[53:56], v22 offset:12288
	;; [unrolled: 1-line block ×4, first 2 shown]
	s_wait_dscnt 0x10
	v_dot2_f32_f16 v127, v97, v89, v127
	v_dot2_f32_f16 v128, v97, v90, v128
	;; [unrolled: 1-line block ×32, first 2 shown]
	s_wait_dscnt 0xf
	v_dot2_f32_f16 v163, v101, v89, v163
	v_dot2_f32_f16 v164, v101, v90, v164
	;; [unrolled: 1-line block ×32, first 2 shown]
	ds_load_b128 v[61:64], v22 offset:12544
	ds_load_b128 v[69:72], v22 offset:12800
	;; [unrolled: 1-line block ×4, first 2 shown]
	s_wait_dscnt 0x10
	v_dot2_f32_f16 v127, v113, v105, v127
	v_dot2_f32_f16 v128, v113, v106, v128
	;; [unrolled: 1-line block ×32, first 2 shown]
	s_wait_dscnt 0xf
	v_dot2_f32_f16 v163, v117, v105, v163
	v_dot2_f32_f16 v164, v117, v106, v164
	;; [unrolled: 1-line block ×32, first 2 shown]
	ds_load_b128 v[77:80], v22 offset:13056
	ds_load_b128 v[85:88], v22 offset:13312
	;; [unrolled: 1-line block ×4, first 2 shown]
	s_wait_dscnt 0x11
	v_dot2_f32_f16 v127, v121, v33, v127
	v_dot2_f32_f16 v128, v121, v34, v128
	v_dot2_f32_f16 v133, v121, v35, v133
	v_dot2_f32_f16 v134, v121, v36, v134
	v_dot2_f32_f16 v135, v122, v33, v135
	v_dot2_f32_f16 v136, v122, v34, v136
	v_dot2_f32_f16 v137, v122, v35, v137
	v_dot2_f32_f16 v138, v122, v36, v138
	v_dot2_f32_f16 v139, v123, v33, v139
	v_dot2_f32_f16 v140, v123, v34, v140
	v_dot2_f32_f16 v141, v123, v35, v141
	v_dot2_f32_f16 v142, v123, v36, v142
	v_dot2_f32_f16 v143, v124, v33, v143
	v_dot2_f32_f16 v144, v124, v34, v144
	v_dot2_f32_f16 v145, v124, v35, v145
	v_dot2_f32_f16 v146, v124, v36, v146
	s_wait_dscnt 0x10
	v_dot2_f32_f16 v147, v121, v25, v147
	v_dot2_f32_f16 v148, v121, v26, v148
	v_dot2_f32_f16 v149, v121, v27, v149
	v_dot2_f32_f16 v150, v121, v28, v150
	v_dot2_f32_f16 v151, v122, v25, v151
	v_dot2_f32_f16 v152, v122, v26, v152
	v_dot2_f32_f16 v153, v122, v27, v153
	v_dot2_f32_f16 v154, v122, v28, v154
	v_dot2_f32_f16 v155, v123, v25, v155
	v_dot2_f32_f16 v156, v123, v26, v156
	v_dot2_f32_f16 v157, v123, v27, v157
	v_dot2_f32_f16 v158, v123, v28, v158
	v_dot2_f32_f16 v159, v124, v25, v159
	v_dot2_f32_f16 v160, v124, v26, v160
	v_dot2_f32_f16 v161, v124, v27, v161
	v_dot2_f32_f16 v162, v124, v28, v162
	;; [unrolled: 17-line block ×3, first 2 shown]
	v_dot2_f32_f16 v173, v29, v25, v173
	v_dot2_f32_f16 v174, v29, v26, v174
	v_dot2_f32_f16 v175, v29, v27, v175
	v_dot2_f32_f16 v176, v29, v28, v176
	v_dot2_f32_f16 v177, v30, v25, v177
	v_dot2_f32_f16 v178, v30, v26, v178
	v_dot2_f32_f16 v179, v30, v27, v179
	v_dot2_f32_f16 v180, v30, v28, v180
	v_dot2_f32_f16 v181, v31, v25, v181
	v_dot2_f32_f16 v182, v31, v26, v182
	v_dot2_f32_f16 v183, v31, v27, v183
	v_dot2_f32_f16 v184, v31, v28, v184
	v_dot2_f32_f16 v185, v32, v25, v185
	v_dot2_f32_f16 v186, v32, v26, v186
	v_dot2_f32_f16 v187, v32, v27, v187
	v_dot2_f32_f16 v188, v32, v28, v188
	ds_load_b128 v[93:96], v22 offset:13568
	ds_load_b128 v[101:104], v22 offset:13824
	;; [unrolled: 1-line block ×4, first 2 shown]
	s_wait_dscnt 0x11
	v_dot2_f32_f16 v127, v37, v49, v127
	v_dot2_f32_f16 v128, v37, v50, v128
	v_dot2_f32_f16 v133, v37, v51, v133
	v_dot2_f32_f16 v134, v37, v52, v134
	v_dot2_f32_f16 v135, v38, v49, v135
	v_dot2_f32_f16 v136, v38, v50, v136
	v_dot2_f32_f16 v137, v38, v51, v137
	v_dot2_f32_f16 v138, v38, v52, v138
	v_dot2_f32_f16 v139, v39, v49, v139
	v_dot2_f32_f16 v140, v39, v50, v140
	v_dot2_f32_f16 v141, v39, v51, v141
	v_dot2_f32_f16 v142, v39, v52, v142
	v_dot2_f32_f16 v143, v40, v49, v143
	v_dot2_f32_f16 v144, v40, v50, v144
	v_dot2_f32_f16 v145, v40, v51, v145
	v_dot2_f32_f16 v146, v40, v52, v146
	s_wait_dscnt 0x10
	v_dot2_f32_f16 v147, v37, v41, v147
	v_dot2_f32_f16 v148, v37, v42, v148
	v_dot2_f32_f16 v149, v37, v43, v149
	v_dot2_f32_f16 v150, v37, v44, v150
	v_dot2_f32_f16 v151, v38, v41, v151
	v_dot2_f32_f16 v152, v38, v42, v152
	v_dot2_f32_f16 v153, v38, v43, v153
	v_dot2_f32_f16 v154, v38, v44, v154
	v_dot2_f32_f16 v155, v39, v41, v155
	v_dot2_f32_f16 v156, v39, v42, v156
	v_dot2_f32_f16 v157, v39, v43, v157
	v_dot2_f32_f16 v158, v39, v44, v158
	v_dot2_f32_f16 v159, v40, v41, v159
	v_dot2_f32_f16 v160, v40, v42, v160
	v_dot2_f32_f16 v161, v40, v43, v161
	v_dot2_f32_f16 v162, v40, v44, v162
	;; [unrolled: 17-line block ×3, first 2 shown]
	v_dot2_f32_f16 v173, v45, v41, v173
	v_dot2_f32_f16 v174, v45, v42, v174
	;; [unrolled: 1-line block ×16, first 2 shown]
	ds_load_b128 v[109:112], v22 offset:14080
	ds_load_b128 v[117:120], v22 offset:14336
	;; [unrolled: 1-line block ×4, first 2 shown]
	s_wait_dscnt 0x11
	v_dot2_f32_f16 v127, v53, v65, v127
	v_dot2_f32_f16 v128, v53, v66, v128
	v_dot2_f32_f16 v133, v53, v67, v133
	v_dot2_f32_f16 v134, v53, v68, v134
	v_dot2_f32_f16 v135, v54, v65, v135
	v_dot2_f32_f16 v136, v54, v66, v136
	v_dot2_f32_f16 v137, v54, v67, v137
	v_dot2_f32_f16 v138, v54, v68, v138
	v_dot2_f32_f16 v139, v55, v65, v139
	v_dot2_f32_f16 v140, v55, v66, v140
	v_dot2_f32_f16 v141, v55, v67, v141
	v_dot2_f32_f16 v142, v55, v68, v142
	v_dot2_f32_f16 v143, v56, v65, v143
	v_dot2_f32_f16 v144, v56, v66, v144
	v_dot2_f32_f16 v145, v56, v67, v145
	v_dot2_f32_f16 v146, v56, v68, v146
	s_wait_dscnt 0x10
	v_dot2_f32_f16 v147, v53, v57, v147
	v_dot2_f32_f16 v148, v53, v58, v148
	v_dot2_f32_f16 v149, v53, v59, v149
	v_dot2_f32_f16 v150, v53, v60, v150
	v_dot2_f32_f16 v151, v54, v57, v151
	v_dot2_f32_f16 v152, v54, v58, v152
	v_dot2_f32_f16 v153, v54, v59, v153
	v_dot2_f32_f16 v154, v54, v60, v154
	v_dot2_f32_f16 v155, v55, v57, v155
	v_dot2_f32_f16 v156, v55, v58, v156
	v_dot2_f32_f16 v157, v55, v59, v157
	v_dot2_f32_f16 v158, v55, v60, v158
	v_dot2_f32_f16 v159, v56, v57, v159
	v_dot2_f32_f16 v160, v56, v58, v160
	v_dot2_f32_f16 v161, v56, v59, v161
	v_dot2_f32_f16 v162, v56, v60, v162
	;; [unrolled: 17-line block ×3, first 2 shown]
	v_dot2_f32_f16 v173, v61, v57, v173
	v_dot2_f32_f16 v174, v61, v58, v174
	;; [unrolled: 1-line block ×16, first 2 shown]
	ds_load_b128 v[25:28], v22 offset:14592
	ds_load_b128 v[29:32], v22 offset:14848
	ds_load_b128 v[37:40], v23 offset:31232
	ds_load_b128 v[49:52], v23 offset:31488
	s_wait_dscnt 0x11
	v_dot2_f32_f16 v191, v69, v81, v127
	v_dot2_f32_f16 v192, v69, v82, v128
	v_dot2_f32_f16 v193, v69, v83, v133
	v_dot2_f32_f16 v194, v69, v84, v134
	v_dot2_f32_f16 v195, v70, v81, v135
	v_dot2_f32_f16 v196, v70, v82, v136
	v_dot2_f32_f16 v137, v70, v83, v137
	v_dot2_f32_f16 v138, v70, v84, v138
	v_dot2_f32_f16 v139, v71, v81, v139
	v_dot2_f32_f16 v140, v71, v82, v140
	v_dot2_f32_f16 v141, v71, v83, v141
	v_dot2_f32_f16 v142, v71, v84, v142
	v_dot2_f32_f16 v143, v72, v81, v143
	v_dot2_f32_f16 v144, v72, v82, v144
	v_dot2_f32_f16 v145, v72, v83, v145
	v_dot2_f32_f16 v146, v72, v84, v146
	s_wait_dscnt 0x10
	v_dot2_f32_f16 v147, v69, v73, v147
	v_dot2_f32_f16 v148, v69, v74, v148
	v_dot2_f32_f16 v149, v69, v75, v149
	v_dot2_f32_f16 v69, v69, v76, v150
	v_dot2_f32_f16 v150, v70, v73, v151
	v_dot2_f32_f16 v151, v70, v74, v152
	v_dot2_f32_f16 v152, v70, v75, v153
	v_dot2_f32_f16 v70, v70, v76, v154
	v_dot2_f32_f16 v153, v71, v73, v155
	v_dot2_f32_f16 v154, v71, v74, v156
	v_dot2_f32_f16 v155, v71, v75, v157
	v_dot2_f32_f16 v71, v71, v76, v158
	v_dot2_f32_f16 v156, v72, v73, v159
	v_dot2_f32_f16 v157, v72, v74, v160
	v_dot2_f32_f16 v158, v72, v75, v161
	v_dot2_f32_f16 v72, v72, v76, v162
	;; [unrolled: 17-line block ×3, first 2 shown]
	v_dot2_f32_f16 v169, v77, v73, v173
	v_dot2_f32_f16 v170, v77, v74, v174
	;; [unrolled: 1-line block ×16, first 2 shown]
	ds_load_b128 v[41:44], v22 offset:15104
	ds_load_b128 v[45:48], v22 offset:15360
	ds_load_b128 v[53:56], v23 offset:31744
	ds_load_b128 v[65:68], v23 offset:32000
	s_wait_dscnt 0x11
	v_dot2_f32_f16 v80, v85, v97, v191
	v_dot2_f32_f16 v178, v85, v98, v192
	v_dot2_f32_f16 v179, v85, v99, v193
	v_dot2_f32_f16 v180, v85, v100, v194
	v_dot2_f32_f16 v181, v86, v97, v195
	v_dot2_f32_f16 v182, v86, v98, v196
	v_dot2_f32_f16 v137, v86, v99, v137
	v_dot2_f32_f16 v138, v86, v100, v138
	v_dot2_f32_f16 v139, v87, v97, v139
	v_dot2_f32_f16 v140, v87, v98, v140
	v_dot2_f32_f16 v141, v87, v99, v141
	v_dot2_f32_f16 v142, v87, v100, v142
	v_dot2_f32_f16 v143, v88, v97, v143
	v_dot2_f32_f16 v144, v88, v98, v144
	v_dot2_f32_f16 v145, v88, v99, v145
	v_dot2_f32_f16 v146, v88, v100, v146
	s_wait_dscnt 0x10
	v_dot2_f32_f16 v147, v85, v89, v147
	v_dot2_f32_f16 v148, v85, v90, v148
	v_dot2_f32_f16 v149, v85, v91, v149
	v_dot2_f32_f16 v69, v85, v92, v69
	v_dot2_f32_f16 v85, v86, v89, v150
	v_dot2_f32_f16 v150, v86, v90, v151
	v_dot2_f32_f16 v151, v86, v91, v152
	v_dot2_f32_f16 v70, v86, v92, v70
	v_dot2_f32_f16 v86, v87, v89, v153
	v_dot2_f32_f16 v152, v87, v90, v154
	v_dot2_f32_f16 v153, v87, v91, v155
	v_dot2_f32_f16 v71, v87, v92, v71
	v_dot2_f32_f16 v87, v88, v89, v156
	v_dot2_f32_f16 v154, v88, v90, v157
	v_dot2_f32_f16 v155, v88, v91, v158
	v_dot2_f32_f16 v72, v88, v92, v72
	;; [unrolled: 17-line block ×3, first 2 shown]
	v_dot2_f32_f16 v97, v93, v89, v169
	v_dot2_f32_f16 v98, v93, v90, v170
	;; [unrolled: 1-line block ×16, first 2 shown]
	ds_load_b128 v[57:60], v22 offset:15616
	ds_load_b128 v[61:64], v22 offset:15872
	;; [unrolled: 1-line block ×5, first 2 shown]
	s_wait_dscnt 0x12
	v_dot2_f32_f16 v80, v101, v113, v80
	v_dot2_f32_f16 v89, v101, v114, v178
	v_dot2_f32_f16 v90, v101, v115, v179
	v_dot2_f32_f16 v91, v101, v116, v180
	v_dot2_f32_f16 v92, v102, v113, v181
	v_dot2_f32_f16 v95, v102, v114, v182
	v_dot2_f32_f16 v96, v102, v115, v137
	v_dot2_f32_f16 v137, v102, v116, v138
	v_dot2_f32_f16 v138, v103, v113, v139
	v_dot2_f32_f16 v139, v103, v114, v140
	v_dot2_f32_f16 v140, v103, v115, v141
	v_dot2_f32_f16 v141, v103, v116, v142
	v_dot2_f32_f16 v142, v104, v113, v143
	v_dot2_f32_f16 v143, v104, v114, v144
	v_dot2_f32_f16 v144, v104, v115, v145
	v_dot2_f32_f16 v145, v104, v116, v146
	s_wait_dscnt 0x11
	v_dot2_f32_f16 v146, v101, v105, v147
	v_dot2_f32_f16 v147, v101, v106, v148
	v_dot2_f32_f16 v148, v101, v107, v149
	v_dot2_f32_f16 v69, v101, v108, v69
	v_dot2_f32_f16 v85, v102, v105, v85
	v_dot2_f32_f16 v101, v102, v106, v150
	v_dot2_f32_f16 v149, v102, v107, v151
	v_dot2_f32_f16 v70, v102, v108, v70
	v_dot2_f32_f16 v86, v103, v105, v86
	v_dot2_f32_f16 v102, v103, v106, v152
	v_dot2_f32_f16 v150, v103, v107, v153
	v_dot2_f32_f16 v71, v103, v108, v71
	v_dot2_f32_f16 v87, v104, v105, v87
	v_dot2_f32_f16 v103, v104, v106, v154
	v_dot2_f32_f16 v151, v104, v107, v155
	v_dot2_f32_f16 v72, v104, v108, v72
	;; [unrolled: 17-line block ×3, first 2 shown]
	v_dot2_f32_f16 v97, v109, v105, v97
	v_dot2_f32_f16 v98, v109, v106, v98
	v_dot2_f32_f16 v99, v109, v107, v99
	v_dot2_f32_f16 v77, v109, v108, v77
	v_dot2_f32_f16 v93, v110, v105, v93
	v_dot2_f32_f16 v100, v110, v106, v100
	v_dot2_f32_f16 v109, v110, v107, v167
	v_dot2_f32_f16 v78, v110, v108, v78
	v_dot2_f32_f16 v94, v111, v105, v94
	v_dot2_f32_f16 v110, v111, v106, v168
	v_dot2_f32_f16 v113, v111, v107, v169
	v_dot2_f32_f16 v79, v111, v108, v79
	v_dot2_f32_f16 v73, v112, v105, v73
	v_dot2_f32_f16 v74, v112, v106, v74
	v_dot2_f32_f16 v75, v112, v107, v75
	v_dot2_f32_f16 v76, v112, v108, v76
	s_wait_dscnt 0xe
	v_dot2_f32_f16 v80, v117, v121, v80
	v_dot2_f32_f16 v89, v117, v122, v89
	v_dot2_f32_f16 v90, v117, v123, v90
	v_dot2_f32_f16 v91, v117, v124, v91
	v_dot2_f32_f16 v92, v118, v121, v92
	v_dot2_f32_f16 v95, v118, v122, v95
	v_dot2_f32_f16 v96, v118, v123, v96
	v_dot2_f32_f16 v105, v118, v124, v137
	v_dot2_f32_f16 v106, v119, v121, v138
	v_dot2_f32_f16 v107, v119, v122, v139
	v_dot2_f32_f16 v108, v119, v123, v140
	v_dot2_f32_f16 v111, v119, v124, v141
	v_dot2_f32_f16 v112, v120, v121, v142
	v_dot2_f32_f16 v114, v120, v122, v143
	v_dot2_f32_f16 v115, v120, v123, v144
	v_dot2_f32_f16 v116, v120, v124, v145
	s_wait_dscnt 0xd
	;; [unrolled: 17-line block ×3, first 2 shown]
	v_dot2_f32_f16 v88, v25, v121, v88
	v_dot2_f32_f16 v104, v25, v122, v104
	;; [unrolled: 1-line block ×32, first 2 shown]
	s_wait_dscnt 0xa
	v_dot2_f32_f16 v36, v29, v37, v80
	v_dot2_f32_f16 v73, v29, v38, v89
	v_dot2_f32_f16 v74, v29, v39, v90
	v_dot2_f32_f16 v75, v29, v40, v91
	v_dot2_f32_f16 v76, v30, v37, v92
	v_dot2_f32_f16 v79, v30, v38, v95
	v_dot2_f32_f16 v80, v30, v39, v96
	v_dot2_f32_f16 v89, v30, v40, v105
	v_dot2_f32_f16 v90, v31, v37, v106
	v_dot2_f32_f16 v91, v31, v38, v107
	v_dot2_f32_f16 v92, v31, v39, v108
	v_dot2_f32_f16 v95, v31, v40, v111
	v_dot2_f32_f16 v96, v32, v37, v112
	v_dot2_f32_f16 v105, v32, v38, v114
	v_dot2_f32_f16 v106, v32, v39, v115
	v_dot2_f32_f16 v107, v32, v40, v116
	s_wait_dscnt 0x9
	v_dot2_f32_f16 v108, v29, v49, v137
	v_dot2_f32_f16 v110, v29, v50, v138
	v_dot2_f32_f16 v111, v29, v51, v139
	v_dot2_f32_f16 v29, v29, v52, v69
	v_dot2_f32_f16 v69, v30, v49, v85
	v_dot2_f32_f16 v85, v30, v50, v101
	v_dot2_f32_f16 v101, v30, v51, v117
	v_dot2_f32_f16 v30, v30, v52, v70
	v_dot2_f32_f16 v70, v31, v49, v86
	v_dot2_f32_f16 v86, v31, v50, v102
	v_dot2_f32_f16 v102, v31, v51, v118
	v_dot2_f32_f16 v31, v31, v52, v71
	v_dot2_f32_f16 v71, v32, v49, v87
	v_dot2_f32_f16 v87, v32, v50, v103
	v_dot2_f32_f16 v103, v32, v51, v119
	v_dot2_f32_f16 v32, v32, v52, v72
	;; [unrolled: 17-line block ×3, first 2 shown]
	v_dot2_f32_f16 v81, v41, v49, v97
	v_dot2_f32_f16 v82, v41, v50, v98
	v_dot2_f32_f16 v83, v41, v51, v99
	v_dot2_f32_f16 v25, v41, v52, v25
	v_dot2_f32_f16 v41, v42, v49, v77
	v_dot2_f32_f16 v77, v42, v50, v93
	v_dot2_f32_f16 v84, v42, v51, v100
	v_dot2_f32_f16 v26, v42, v52, v26
	v_dot2_f32_f16 v42, v43, v49, v78
	v_dot2_f32_f16 v78, v43, v50, v94
	v_dot2_f32_f16 v93, v43, v51, v109
	v_dot2_f32_f16 v27, v43, v52, v27
	v_dot2_f32_f16 v33, v44, v49, v33
	v_dot2_f32_f16 v34, v44, v50, v34
	v_dot2_f32_f16 v35, v44, v51, v35
	v_dot2_f32_f16 v28, v44, v52, v28
	s_wait_dscnt 0x6
	v_dot2_f32_f16 v36, v45, v53, v36
	v_dot2_f32_f16 v43, v45, v54, v73
	v_dot2_f32_f16 v44, v45, v55, v74
	v_dot2_f32_f16 v49, v45, v56, v75
	v_dot2_f32_f16 v50, v46, v53, v76
	v_dot2_f32_f16 v51, v46, v54, v79
	v_dot2_f32_f16 v52, v46, v55, v80
	v_dot2_f32_f16 v73, v46, v56, v89
	v_dot2_f32_f16 v74, v47, v53, v90
	v_dot2_f32_f16 v75, v47, v54, v91
	v_dot2_f32_f16 v76, v47, v55, v92
	v_dot2_f32_f16 v79, v47, v56, v95
	v_dot2_f32_f16 v80, v48, v53, v96
	v_dot2_f32_f16 v89, v48, v54, v105
	v_dot2_f32_f16 v90, v48, v55, v106
	v_dot2_f32_f16 v91, v48, v56, v107
	s_wait_dscnt 0x5
	;; [unrolled: 17-line block ×3, first 2 shown]
	v_dot2_f32_f16 v48, v57, v53, v72
	v_dot2_f32_f16 v72, v57, v54, v88
	;; [unrolled: 1-line block ×32, first 2 shown]
	v_add_nc_u32_e32 v16, s14, v16
	v_add_nc_u32_e32 v17, s22, v17
	s_wait_dscnt 0x2
	v_dot2_f32_f16 v88, v61, v125, v36
	v_dot2_f32_f16 v87, v61, v126, v43
	;; [unrolled: 1-line block ×16, first 2 shown]
	s_wait_dscnt 0x0
	v_dot2_f32_f16 v80, v61, v129, v92
	v_dot2_f32_f16 v79, v61, v130, v94
	;; [unrolled: 1-line block ×48, first 2 shown]
	s_add_co_i32 s15, s15, 32
	s_add_co_i32 s24, s24, s21
	;; [unrolled: 1-line block ×17, first 2 shown]
	s_wait_alu 0xfffe
	s_cmp_lt_i32 s15, s12
	ds_store_b128 v24, v[0:3]
	ds_store_b128 v24, v[4:7] offset:512
	ds_store_b128 v24, v[8:11] offset:16384
	;; [unrolled: 1-line block ×3, first 2 shown]
	s_cbranch_scc1 .LBB1_1
; %bb.2:
	s_mul_i32 s14, s20, 3
	s_mul_i32 s15, s20, 30
	;; [unrolled: 1-line block ×3, first 2 shown]
	s_wait_alu 0xfffe
	v_add3_u32 v0, s15, s14, v17
	s_mul_i32 s21, s19, 30
	s_add_co_i32 s22, s15, s13
	s_wait_alu 0xfffe
	v_add3_u32 v3, s21, s12, v16
	v_add_lshl_u32 v1, s22, v17, 1
	v_lshlrev_b32_e32 v2, 1, v0
	v_add_nc_u32_e32 v0, s13, v0
	s_wait_dscnt 0x0
	s_barrier_signal -1
	s_barrier_wait -1
	s_clause 0x1
	buffer_load_b64 v[4:5], v1, s[4:7], null offen
	buffer_load_b64 v[6:7], v2, s[4:7], null offen
	v_add_nc_u32_e32 v1, s17, v3
	s_add_co_i32 s14, s21, s17
	v_subrev_nc_u32_e32 v2, s20, v0
	s_wait_alu 0xfffe
	v_add_lshl_u32 v8, s14, v16, 1
	v_lshlrev_b32_e32 v3, 1, v3
	v_subrev_nc_u32_e32 v12, s19, v1
	v_lshlrev_b32_e32 v0, 1, v0
	v_lshlrev_b32_e32 v2, 1, v2
	;; [unrolled: 1-line block ×3, first 2 shown]
	s_clause 0x1
	buffer_load_b64 v[8:9], v8, s[8:11], null offen
	buffer_load_b64 v[10:11], v3, s[8:11], null offen
	v_lshlrev_b32_e32 v3, 1, v12
	s_clause 0x1
	buffer_load_b64 v[12:13], v0, s[4:7], null offen
	buffer_load_b64 v[14:15], v2, s[4:7], null offen
	s_clause 0x1
	buffer_load_b64 v[16:17], v1, s[8:11], null offen
	buffer_load_b64 v[18:19], v3, s[8:11], null offen
	ds_load_b128 v[0:3], v22
	ds_load_b128 v[89:92], v23 offset:16384
	ds_load_b128 v[93:96], v23 offset:16640
	;; [unrolled: 1-line block ×19, first 2 shown]
	s_lshl_b32 s2, s2, 1
	s_wait_dscnt 0x12
	v_dot2_f32_f16 v88, v0, v89, v88
	v_dot2_f32_f16 v87, v0, v90, v87
	v_dot2_f32_f16 v86, v0, v91, v86
	v_dot2_f32_f16 v85, v0, v92, v85
	s_wait_dscnt 0x11
	v_dot2_f32_f16 v80, v0, v93, v80
	v_dot2_f32_f16 v79, v0, v94, v79
	v_dot2_f32_f16 v78, v0, v95, v78
	v_dot2_f32_f16 v0, v0, v96, v76
	;; [unrolled: 5-line block ×3, first 2 shown]
	v_dot2_f32_f16 v32, v98, v90, v32
	v_dot2_f32_f16 v31, v98, v91, v31
	;; [unrolled: 1-line block ×32, first 2 shown]
	s_wait_dscnt 0xd
	v_dot2_f32_f16 v0, v109, v108, v0
	s_wait_dscnt 0xc
	v_dot2_f32_f16 v36, v113, v102, v36
	v_dot2_f32_f16 v35, v113, v103, v35
	;; [unrolled: 1-line block ×15, first 2 shown]
	s_wait_dscnt 0x9
	v_dot2_f32_f16 v0, v125, v124, v0
	s_wait_dscnt 0x8
	v_dot2_f32_f16 v36, v129, v118, v36
	v_dot2_f32_f16 v35, v129, v119, v35
	;; [unrolled: 1-line block ×35, first 2 shown]
	s_wait_dscnt 0x5
	v_dot2_f32_f16 v0, v141, v140, v0
	s_wait_dscnt 0x4
	v_dot2_f32_f16 v36, v145, v134, v36
	v_dot2_f32_f16 v35, v145, v135, v35
	;; [unrolled: 1-line block ×63, first 2 shown]
	s_wait_dscnt 0x1
	v_dot2_f32_f16 v92, v157, v156, v0
	s_wait_dscnt 0x0
	v_dot2_f32_f16 v93, v161, v150, v36
	v_dot2_f32_f16 v94, v161, v151, v35
	;; [unrolled: 1-line block ×7, first 2 shown]
	ds_load_b128 v[25:28], v23 offset:18944
	v_dot2_f32_f16 v100, v161, v153, v29
	ds_load_b128 v[29:32], v23 offset:19200
	v_dot2_f32_f16 v69, v125, v117, v69
	v_dot2_f32_f16 v70, v125, v118, v70
	;; [unrolled: 1-line block ×133, first 2 shown]
	s_wait_loadcnt 0x6
	v_perm_b32 v3, v7, v5, 0x7060302
	v_perm_b32 v1, v6, v4, 0x7060302
	;; [unrolled: 1-line block ×4, first 2 shown]
	v_dot2_f32_f16 v63, v164, v150, v63
	v_dot2_f32_f16 v64, v164, v151, v64
	v_dot2_f32_f16 v68, v164, v152, v68
	v_dot2_f32_f16 v88, v161, v154, v88
	v_dot2_f32_f16 v89, v161, v155, v89
	v_dot2_f32_f16 v90, v161, v156, v90
	s_wait_loadcnt 0x4
	v_perm_b32 v7, v11, v9, 0x7060302
	v_perm_b32 v5, v10, v8, 0x7060302
	v_perm_b32 v4, v10, v8, 0x5040100
	v_perm_b32 v6, v11, v9, 0x5040100
	s_wait_loadcnt 0x2
	v_perm_b32 v11, v13, v15, 0x7060302
	v_perm_b32 v9, v12, v14, 0x7060302
	v_perm_b32 v8, v12, v14, 0x5040100
	v_perm_b32 v10, v13, v15, 0x5040100
	;; [unrolled: 5-line block ×3, first 2 shown]
	ds_load_b128 v[16:19], v22 offset:2560
	ds_load_b128 v[33:36], v22 offset:2816
	v_dot2_f32_f16 v91, v162, v153, v91
	v_dot2_f32_f16 v42, v162, v154, v42
	;; [unrolled: 1-line block ×12, first 2 shown]
	s_and_b32 s1, s1, 0xffff
	s_wait_dscnt 0x1
	v_dot2_f32_f16 v69, v16, v25, v69
	v_dot2_f32_f16 v70, v16, v26, v70
	;; [unrolled: 1-line block ×32, first 2 shown]
	ds_load_b128 v[16:19], v22 offset:3072
	s_wait_dscnt 0x1
	v_dot2_f32_f16 v103, v33, v25, v37
	v_dot2_f32_f16 v93, v33, v26, v93
	;; [unrolled: 1-line block ×15, first 2 shown]
	ds_load_b128 v[37:40], v23 offset:19456
	v_dot2_f32_f16 v68, v36, v28, v68
	v_dot2_f32_f16 v100, v33, v29, v100
	v_dot2_f32_f16 v88, v33, v30, v88
	v_dot2_f32_f16 v89, v33, v31, v89
	v_dot2_f32_f16 v90, v33, v32, v90
	v_dot2_f32_f16 v91, v34, v29, v91
	v_dot2_f32_f16 v42, v34, v30, v42
	v_dot2_f32_f16 v43, v34, v31, v43
	v_dot2_f32_f16 v44, v34, v32, v44
	v_dot2_f32_f16 v46, v35, v29, v46
	v_dot2_f32_f16 v47, v35, v30, v47
	v_dot2_f32_f16 v48, v35, v31, v48
	v_dot2_f32_f16 v49, v35, v32, v49
	v_dot2_f32_f16 v53, v36, v29, v53
	v_dot2_f32_f16 v54, v36, v30, v54
	ds_load_b128 v[25:28], v23 offset:19712
	v_dot2_f32_f16 v56, v36, v31, v56
	v_dot2_f32_f16 v57, v36, v32, v57
	ds_load_b128 v[29:32], v22 offset:3328
	s_wait_dscnt 0x2
	v_dot2_f32_f16 v69, v16, v37, v69
	v_dot2_f32_f16 v70, v16, v38, v70
	;; [unrolled: 1-line block ×16, first 2 shown]
	s_wait_dscnt 0x1
	v_dot2_f32_f16 v80, v16, v25, v80
	v_dot2_f32_f16 v79, v16, v26, v79
	;; [unrolled: 1-line block ×16, first 2 shown]
	ds_load_b128 v[16:19], v22 offset:3584
	s_wait_dscnt 0x1
	v_dot2_f32_f16 v103, v29, v37, v103
	v_dot2_f32_f16 v93, v29, v38, v93
	;; [unrolled: 1-line block ×15, first 2 shown]
	ds_load_b128 v[33:36], v23 offset:19968
	v_dot2_f32_f16 v68, v32, v40, v68
	v_dot2_f32_f16 v100, v29, v25, v100
	;; [unrolled: 1-line block ×15, first 2 shown]
	ds_load_b128 v[37:40], v23 offset:20224
	v_dot2_f32_f16 v56, v32, v27, v56
	v_dot2_f32_f16 v57, v32, v28, v57
	ds_load_b128 v[25:28], v22 offset:3840
	s_wait_dscnt 0x2
	v_dot2_f32_f16 v69, v16, v33, v69
	v_dot2_f32_f16 v70, v16, v34, v70
	;; [unrolled: 1-line block ×16, first 2 shown]
	s_wait_dscnt 0x1
	v_dot2_f32_f16 v80, v16, v37, v80
	v_dot2_f32_f16 v79, v16, v38, v79
	;; [unrolled: 1-line block ×16, first 2 shown]
	ds_load_b128 v[16:19], v22 offset:4096
	s_wait_dscnt 0x1
	v_dot2_f32_f16 v103, v25, v33, v103
	v_dot2_f32_f16 v93, v25, v34, v93
	;; [unrolled: 1-line block ×15, first 2 shown]
	ds_load_b128 v[29:32], v23 offset:20480
	v_dot2_f32_f16 v68, v28, v36, v68
	v_dot2_f32_f16 v100, v25, v37, v100
	;; [unrolled: 1-line block ×15, first 2 shown]
	ds_load_b128 v[33:36], v23 offset:20736
	v_dot2_f32_f16 v56, v28, v39, v56
	v_dot2_f32_f16 v57, v28, v40, v57
	ds_load_b128 v[25:28], v22 offset:4352
	s_wait_dscnt 0x2
	v_dot2_f32_f16 v69, v16, v29, v69
	v_dot2_f32_f16 v70, v16, v30, v70
	;; [unrolled: 1-line block ×16, first 2 shown]
	s_wait_dscnt 0x1
	v_dot2_f32_f16 v80, v16, v33, v80
	v_dot2_f32_f16 v79, v16, v34, v79
	;; [unrolled: 1-line block ×16, first 2 shown]
	ds_load_b128 v[16:19], v22 offset:4608
	s_wait_dscnt 0x1
	v_dot2_f32_f16 v103, v25, v29, v103
	v_dot2_f32_f16 v93, v25, v30, v93
	;; [unrolled: 1-line block ×15, first 2 shown]
	ds_load_b128 v[37:40], v23 offset:20992
	v_dot2_f32_f16 v68, v28, v32, v68
	v_dot2_f32_f16 v100, v25, v33, v100
	;; [unrolled: 1-line block ×15, first 2 shown]
	ds_load_b128 v[29:32], v23 offset:21248
	v_dot2_f32_f16 v56, v28, v35, v56
	v_dot2_f32_f16 v57, v28, v36, v57
	ds_load_b128 v[25:28], v22 offset:4864
	s_wait_dscnt 0x2
	v_dot2_f32_f16 v69, v16, v37, v69
	v_dot2_f32_f16 v70, v16, v38, v70
	;; [unrolled: 1-line block ×16, first 2 shown]
	s_wait_dscnt 0x1
	v_dot2_f32_f16 v80, v16, v29, v80
	v_dot2_f32_f16 v79, v16, v30, v79
	;; [unrolled: 1-line block ×16, first 2 shown]
	ds_load_b128 v[16:19], v22 offset:5120
	s_wait_dscnt 0x1
	v_dot2_f32_f16 v103, v25, v37, v103
	v_dot2_f32_f16 v93, v25, v38, v93
	;; [unrolled: 1-line block ×15, first 2 shown]
	ds_load_b128 v[33:36], v23 offset:21504
	v_dot2_f32_f16 v68, v28, v40, v68
	v_dot2_f32_f16 v100, v25, v29, v100
	;; [unrolled: 1-line block ×15, first 2 shown]
	ds_load_b128 v[37:40], v23 offset:21760
	v_dot2_f32_f16 v56, v28, v31, v56
	v_dot2_f32_f16 v57, v28, v32, v57
	ds_load_b128 v[25:28], v22 offset:5376
	s_wait_dscnt 0x2
	v_dot2_f32_f16 v69, v16, v33, v69
	v_dot2_f32_f16 v70, v16, v34, v70
	;; [unrolled: 1-line block ×16, first 2 shown]
	s_wait_dscnt 0x1
	v_dot2_f32_f16 v80, v16, v37, v80
	v_dot2_f32_f16 v79, v16, v38, v79
	;; [unrolled: 1-line block ×16, first 2 shown]
	ds_load_b128 v[16:19], v22 offset:5632
	s_wait_dscnt 0x1
	v_dot2_f32_f16 v103, v25, v33, v103
	v_dot2_f32_f16 v93, v25, v34, v93
	;; [unrolled: 1-line block ×15, first 2 shown]
	ds_load_b128 v[29:32], v23 offset:22016
	v_dot2_f32_f16 v68, v28, v36, v68
	v_dot2_f32_f16 v100, v25, v37, v100
	;; [unrolled: 1-line block ×15, first 2 shown]
	ds_load_b128 v[33:36], v23 offset:22272
	v_dot2_f32_f16 v56, v28, v39, v56
	v_dot2_f32_f16 v57, v28, v40, v57
	ds_load_b128 v[25:28], v22 offset:5888
	s_wait_dscnt 0x2
	v_dot2_f32_f16 v69, v16, v29, v69
	v_dot2_f32_f16 v70, v16, v30, v70
	;; [unrolled: 1-line block ×16, first 2 shown]
	s_wait_dscnt 0x1
	v_dot2_f32_f16 v80, v16, v33, v80
	v_dot2_f32_f16 v79, v16, v34, v79
	;; [unrolled: 1-line block ×16, first 2 shown]
	ds_load_b128 v[16:19], v22 offset:6144
	s_wait_dscnt 0x1
	v_dot2_f32_f16 v103, v25, v29, v103
	v_dot2_f32_f16 v93, v25, v30, v93
	;; [unrolled: 1-line block ×15, first 2 shown]
	ds_load_b128 v[37:40], v23 offset:22528
	v_dot2_f32_f16 v68, v28, v32, v68
	v_dot2_f32_f16 v100, v25, v33, v100
	;; [unrolled: 1-line block ×15, first 2 shown]
	ds_load_b128 v[29:32], v23 offset:22784
	v_dot2_f32_f16 v56, v28, v35, v56
	v_dot2_f32_f16 v57, v28, v36, v57
	ds_load_b128 v[25:28], v22 offset:6400
	s_wait_dscnt 0x2
	v_dot2_f32_f16 v69, v16, v37, v69
	v_dot2_f32_f16 v70, v16, v38, v70
	;; [unrolled: 1-line block ×16, first 2 shown]
	s_wait_dscnt 0x1
	v_dot2_f32_f16 v80, v16, v29, v80
	v_dot2_f32_f16 v79, v16, v30, v79
	;; [unrolled: 1-line block ×16, first 2 shown]
	ds_load_b128 v[16:19], v22 offset:6656
	s_wait_dscnt 0x1
	v_dot2_f32_f16 v103, v25, v37, v103
	v_dot2_f32_f16 v93, v25, v38, v93
	v_dot2_f32_f16 v94, v25, v39, v94
	v_dot2_f32_f16 v95, v25, v40, v95
	v_dot2_f32_f16 v96, v26, v37, v96
	v_dot2_f32_f16 v97, v26, v38, v97
	v_dot2_f32_f16 v98, v26, v39, v98
	v_dot2_f32_f16 v99, v26, v40, v99
	v_dot2_f32_f16 v104, v27, v37, v104
	v_dot2_f32_f16 v45, v27, v38, v45
	v_dot2_f32_f16 v60, v27, v39, v60
	v_dot2_f32_f16 v61, v27, v40, v61
	v_dot2_f32_f16 v62, v28, v37, v62
	v_dot2_f32_f16 v63, v28, v38, v63
	v_dot2_f32_f16 v64, v28, v39, v64
	ds_load_b128 v[33:36], v23 offset:23040
	v_dot2_f32_f16 v68, v28, v40, v68
	v_dot2_f32_f16 v100, v25, v29, v100
	;; [unrolled: 1-line block ×15, first 2 shown]
	ds_load_b128 v[37:40], v23 offset:23296
	v_dot2_f32_f16 v56, v28, v31, v56
	v_dot2_f32_f16 v57, v28, v32, v57
	ds_load_b128 v[25:28], v22 offset:6912
	s_wait_dscnt 0x2
	v_dot2_f32_f16 v69, v16, v33, v69
	v_dot2_f32_f16 v70, v16, v34, v70
	;; [unrolled: 1-line block ×16, first 2 shown]
	s_wait_dscnt 0x1
	v_dot2_f32_f16 v80, v16, v37, v80
	v_dot2_f32_f16 v79, v16, v38, v79
	;; [unrolled: 1-line block ×16, first 2 shown]
	ds_load_b128 v[16:19], v22 offset:7168
	s_wait_dscnt 0x1
	v_dot2_f32_f16 v103, v25, v33, v103
	v_dot2_f32_f16 v93, v25, v34, v93
	;; [unrolled: 1-line block ×15, first 2 shown]
	ds_load_b128 v[29:32], v23 offset:23552
	v_dot2_f32_f16 v68, v28, v36, v68
	v_dot2_f32_f16 v100, v25, v37, v100
	;; [unrolled: 1-line block ×15, first 2 shown]
	ds_load_b128 v[33:36], v23 offset:23808
	v_dot2_f32_f16 v56, v28, v39, v56
	v_dot2_f32_f16 v57, v28, v40, v57
	ds_load_b128 v[25:28], v22 offset:7424
	s_wait_dscnt 0x2
	v_dot2_f32_f16 v69, v16, v29, v69
	v_dot2_f32_f16 v70, v16, v30, v70
	;; [unrolled: 1-line block ×16, first 2 shown]
	s_wait_dscnt 0x1
	v_dot2_f32_f16 v80, v16, v33, v80
	v_dot2_f32_f16 v79, v16, v34, v79
	v_dot2_f32_f16 v78, v16, v35, v78
	v_dot2_f32_f16 v92, v16, v36, v92
	v_dot2_f32_f16 v71, v17, v33, v71
	v_dot2_f32_f16 v67, v17, v34, v67
	v_dot2_f32_f16 v66, v17, v35, v66
	v_dot2_f32_f16 v85, v17, v36, v85
	v_dot2_f32_f16 v52, v18, v33, v52
	v_dot2_f32_f16 v51, v18, v34, v51
	v_dot2_f32_f16 v50, v18, v35, v50
	v_dot2_f32_f16 v86, v18, v36, v86
	v_dot2_f32_f16 v41, v19, v33, v41
	v_dot2_f32_f16 v101, v19, v34, v101
	v_dot2_f32_f16 v102, v19, v35, v102
	v_dot2_f32_f16 v87, v19, v36, v87
	ds_load_b128 v[16:19], v22 offset:7680
	s_wait_dscnt 0x1
	v_dot2_f32_f16 v103, v25, v29, v103
	v_dot2_f32_f16 v93, v25, v30, v93
	;; [unrolled: 1-line block ×15, first 2 shown]
	ds_load_b128 v[37:40], v23 offset:24064
	v_dot2_f32_f16 v68, v28, v32, v68
	v_dot2_f32_f16 v100, v25, v33, v100
	;; [unrolled: 1-line block ×15, first 2 shown]
	ds_load_b128 v[29:32], v23 offset:24320
	v_dot2_f32_f16 v35, v28, v35, v56
	v_dot2_f32_f16 v36, v28, v36, v57
	ds_load_b128 v[25:28], v22 offset:7936
	ds_store_b128 v24, v[0:3] offset:8192
	ds_store_b128 v24, v[8:11] offset:8704
	;; [unrolled: 1-line block ×4, first 2 shown]
	s_wait_dscnt 0x0
	s_barrier_signal -1
	s_barrier_wait -1
	ds_load_b128 v[0:3], v22 offset:8192
	ds_load_b128 v[4:7], v23 offset:24576
	;; [unrolled: 1-line block ×4, first 2 shown]
	v_dot2_f32_f16 v53, v16, v37, v69
	v_dot2_f32_f16 v54, v16, v38, v70
	;; [unrolled: 1-line block ×64, first 2 shown]
	s_wait_dscnt 0x2
	v_dot2_f32_f16 v32, v0, v4, v53
	v_dot2_f32_f16 v33, v0, v5, v54
	;; [unrolled: 1-line block ×16, first 2 shown]
	s_wait_dscnt 0x1
	v_dot2_f32_f16 v69, v0, v8, v80
	v_dot2_f32_f16 v70, v0, v9, v79
	;; [unrolled: 1-line block ×16, first 2 shown]
	ds_load_b128 v[0:3], v22 offset:8704
	s_wait_dscnt 0x1
	v_dot2_f32_f16 v79, v12, v4, v83
	v_dot2_f32_f16 v80, v12, v5, v84
	;; [unrolled: 1-line block ×15, first 2 shown]
	ds_load_b128 v[16:19], v23 offset:25088
	v_dot2_f32_f16 v24, v15, v7, v24
	v_dot2_f32_f16 v40, v12, v8, v40
	;; [unrolled: 1-line block ×15, first 2 shown]
	ds_load_b128 v[4:7], v23 offset:25344
	v_dot2_f32_f16 v31, v15, v10, v31
	v_dot2_f32_f16 v28, v15, v11, v28
	ds_load_b128 v[8:11], v22 offset:8960
	s_wait_dscnt 0x2
	v_dot2_f32_f16 v32, v0, v16, v32
	v_dot2_f32_f16 v33, v0, v17, v33
	;; [unrolled: 1-line block ×16, first 2 shown]
	s_wait_dscnt 0x1
	v_dot2_f32_f16 v69, v0, v4, v69
	v_dot2_f32_f16 v70, v0, v5, v70
	;; [unrolled: 1-line block ×16, first 2 shown]
	ds_load_b128 v[0:3], v22 offset:9216
	s_wait_dscnt 0x1
	v_dot2_f32_f16 v79, v8, v16, v79
	v_dot2_f32_f16 v80, v8, v17, v80
	;; [unrolled: 1-line block ×15, first 2 shown]
	ds_load_b128 v[12:15], v23 offset:25600
	v_dot2_f32_f16 v24, v11, v19, v24
	v_dot2_f32_f16 v40, v8, v4, v40
	;; [unrolled: 1-line block ×15, first 2 shown]
	ds_load_b128 v[16:19], v23 offset:25856
	v_dot2_f32_f16 v31, v11, v6, v31
	v_dot2_f32_f16 v28, v11, v7, v28
	ds_load_b128 v[4:7], v22 offset:9472
	s_wait_dscnt 0x2
	v_dot2_f32_f16 v32, v0, v12, v32
	v_dot2_f32_f16 v33, v0, v13, v33
	;; [unrolled: 1-line block ×16, first 2 shown]
	s_wait_dscnt 0x1
	v_dot2_f32_f16 v69, v0, v16, v69
	v_dot2_f32_f16 v70, v0, v17, v70
	;; [unrolled: 1-line block ×16, first 2 shown]
	ds_load_b128 v[0:3], v22 offset:9728
	s_wait_dscnt 0x1
	v_dot2_f32_f16 v79, v4, v12, v79
	v_dot2_f32_f16 v80, v4, v13, v80
	;; [unrolled: 1-line block ×15, first 2 shown]
	ds_load_b128 v[8:11], v23 offset:26112
	v_dot2_f32_f16 v24, v7, v15, v24
	v_dot2_f32_f16 v40, v4, v16, v40
	v_dot2_f32_f16 v62, v4, v17, v62
	v_dot2_f32_f16 v63, v4, v18, v63
	v_dot2_f32_f16 v25, v4, v19, v25
	v_dot2_f32_f16 v64, v5, v16, v64
	v_dot2_f32_f16 v42, v5, v17, v42
	v_dot2_f32_f16 v43, v5, v18, v43
	v_dot2_f32_f16 v26, v5, v19, v26
	v_dot2_f32_f16 v44, v6, v16, v44
	v_dot2_f32_f16 v46, v6, v17, v46
	v_dot2_f32_f16 v47, v6, v18, v47
	v_dot2_f32_f16 v27, v6, v19, v27
	v_dot2_f32_f16 v29, v7, v16, v29
	v_dot2_f32_f16 v30, v7, v17, v30
	ds_load_b128 v[12:15], v23 offset:26368
	v_dot2_f32_f16 v31, v7, v18, v31
	v_dot2_f32_f16 v28, v7, v19, v28
	ds_load_b128 v[4:7], v22 offset:9984
	s_wait_dscnt 0x2
	v_dot2_f32_f16 v32, v0, v8, v32
	v_dot2_f32_f16 v33, v0, v9, v33
	;; [unrolled: 1-line block ×16, first 2 shown]
	s_wait_dscnt 0x1
	v_dot2_f32_f16 v69, v0, v12, v69
	v_dot2_f32_f16 v70, v0, v13, v70
	;; [unrolled: 1-line block ×16, first 2 shown]
	ds_load_b128 v[0:3], v22 offset:10240
	s_wait_dscnt 0x1
	v_dot2_f32_f16 v79, v4, v8, v79
	v_dot2_f32_f16 v80, v4, v9, v80
	;; [unrolled: 1-line block ×15, first 2 shown]
	ds_load_b128 v[16:19], v23 offset:26624
	v_dot2_f32_f16 v24, v7, v11, v24
	v_dot2_f32_f16 v40, v4, v12, v40
	;; [unrolled: 1-line block ×15, first 2 shown]
	ds_load_b128 v[8:11], v23 offset:26880
	v_dot2_f32_f16 v31, v7, v14, v31
	v_dot2_f32_f16 v28, v7, v15, v28
	ds_load_b128 v[4:7], v22 offset:10496
	s_wait_dscnt 0x2
	v_dot2_f32_f16 v32, v0, v16, v32
	v_dot2_f32_f16 v33, v0, v17, v33
	;; [unrolled: 1-line block ×16, first 2 shown]
	s_wait_dscnt 0x1
	v_dot2_f32_f16 v69, v0, v8, v69
	v_dot2_f32_f16 v70, v0, v9, v70
	;; [unrolled: 1-line block ×16, first 2 shown]
	ds_load_b128 v[0:3], v22 offset:10752
	s_wait_dscnt 0x1
	v_dot2_f32_f16 v79, v4, v16, v79
	v_dot2_f32_f16 v80, v4, v17, v80
	;; [unrolled: 1-line block ×15, first 2 shown]
	ds_load_b128 v[12:15], v23 offset:27136
	v_dot2_f32_f16 v24, v7, v19, v24
	v_dot2_f32_f16 v40, v4, v8, v40
	;; [unrolled: 1-line block ×15, first 2 shown]
	ds_load_b128 v[16:19], v23 offset:27392
	v_dot2_f32_f16 v31, v7, v10, v31
	v_dot2_f32_f16 v28, v7, v11, v28
	ds_load_b128 v[4:7], v22 offset:11008
	s_wait_dscnt 0x2
	v_dot2_f32_f16 v32, v0, v12, v32
	v_dot2_f32_f16 v33, v0, v13, v33
	;; [unrolled: 1-line block ×16, first 2 shown]
	s_wait_dscnt 0x1
	v_dot2_f32_f16 v69, v0, v16, v69
	v_dot2_f32_f16 v70, v0, v17, v70
	;; [unrolled: 1-line block ×16, first 2 shown]
	ds_load_b128 v[0:3], v22 offset:11264
	s_wait_dscnt 0x1
	v_dot2_f32_f16 v79, v4, v12, v79
	v_dot2_f32_f16 v80, v4, v13, v80
	;; [unrolled: 1-line block ×15, first 2 shown]
	ds_load_b128 v[8:11], v23 offset:27648
	v_dot2_f32_f16 v24, v7, v15, v24
	v_dot2_f32_f16 v40, v4, v16, v40
	;; [unrolled: 1-line block ×15, first 2 shown]
	ds_load_b128 v[12:15], v23 offset:27904
	v_dot2_f32_f16 v31, v7, v18, v31
	v_dot2_f32_f16 v28, v7, v19, v28
	ds_load_b128 v[4:7], v22 offset:11520
	s_wait_dscnt 0x2
	v_dot2_f32_f16 v32, v0, v8, v32
	v_dot2_f32_f16 v33, v0, v9, v33
	;; [unrolled: 1-line block ×16, first 2 shown]
	s_wait_dscnt 0x1
	v_dot2_f32_f16 v69, v0, v12, v69
	v_dot2_f32_f16 v70, v0, v13, v70
	;; [unrolled: 1-line block ×16, first 2 shown]
	ds_load_b128 v[0:3], v22 offset:11776
	s_wait_dscnt 0x1
	v_dot2_f32_f16 v79, v4, v8, v79
	v_dot2_f32_f16 v80, v4, v9, v80
	;; [unrolled: 1-line block ×15, first 2 shown]
	ds_load_b128 v[16:19], v23 offset:28160
	v_dot2_f32_f16 v24, v7, v11, v24
	v_dot2_f32_f16 v40, v4, v12, v40
	;; [unrolled: 1-line block ×15, first 2 shown]
	ds_load_b128 v[8:11], v23 offset:28416
	v_dot2_f32_f16 v31, v7, v14, v31
	v_dot2_f32_f16 v28, v7, v15, v28
	ds_load_b128 v[4:7], v22 offset:12032
	s_wait_dscnt 0x2
	v_dot2_f32_f16 v32, v0, v16, v32
	v_dot2_f32_f16 v33, v0, v17, v33
	;; [unrolled: 1-line block ×16, first 2 shown]
	s_wait_dscnt 0x1
	v_dot2_f32_f16 v69, v0, v8, v69
	v_dot2_f32_f16 v70, v0, v9, v70
	v_dot2_f32_f16 v72, v0, v10, v72
	v_dot2_f32_f16 v73, v0, v11, v73
	v_dot2_f32_f16 v71, v1, v8, v71
	v_dot2_f32_f16 v67, v1, v9, v67
	v_dot2_f32_f16 v66, v1, v10, v66
	v_dot2_f32_f16 v74, v1, v11, v74
	v_dot2_f32_f16 v52, v2, v8, v52
	v_dot2_f32_f16 v51, v2, v9, v51
	v_dot2_f32_f16 v50, v2, v10, v50
	v_dot2_f32_f16 v75, v2, v11, v75
	v_dot2_f32_f16 v41, v3, v8, v41
	v_dot2_f32_f16 v76, v3, v9, v76
	v_dot2_f32_f16 v77, v3, v10, v77
	v_dot2_f32_f16 v78, v3, v11, v78
	ds_load_b128 v[0:3], v22 offset:12288
	s_wait_dscnt 0x1
	v_dot2_f32_f16 v79, v4, v16, v79
	v_dot2_f32_f16 v80, v4, v17, v80
	;; [unrolled: 1-line block ×15, first 2 shown]
	ds_load_b128 v[12:15], v23 offset:28672
	v_dot2_f32_f16 v24, v7, v19, v24
	v_dot2_f32_f16 v40, v4, v8, v40
	;; [unrolled: 1-line block ×15, first 2 shown]
	ds_load_b128 v[16:19], v23 offset:28928
	v_dot2_f32_f16 v31, v7, v10, v31
	v_dot2_f32_f16 v28, v7, v11, v28
	ds_load_b128 v[4:7], v22 offset:12544
	s_wait_dscnt 0x2
	v_dot2_f32_f16 v32, v0, v12, v32
	v_dot2_f32_f16 v33, v0, v13, v33
	;; [unrolled: 1-line block ×16, first 2 shown]
	s_wait_dscnt 0x1
	v_dot2_f32_f16 v69, v0, v16, v69
	v_dot2_f32_f16 v70, v0, v17, v70
	;; [unrolled: 1-line block ×16, first 2 shown]
	ds_load_b128 v[0:3], v22 offset:12800
	s_wait_dscnt 0x1
	v_dot2_f32_f16 v79, v4, v12, v79
	v_dot2_f32_f16 v80, v4, v13, v80
	;; [unrolled: 1-line block ×15, first 2 shown]
	ds_load_b128 v[8:11], v23 offset:29184
	v_dot2_f32_f16 v24, v7, v15, v24
	v_dot2_f32_f16 v40, v4, v16, v40
	v_dot2_f32_f16 v62, v4, v17, v62
	v_dot2_f32_f16 v63, v4, v18, v63
	v_dot2_f32_f16 v25, v4, v19, v25
	v_dot2_f32_f16 v64, v5, v16, v64
	v_dot2_f32_f16 v42, v5, v17, v42
	v_dot2_f32_f16 v43, v5, v18, v43
	v_dot2_f32_f16 v26, v5, v19, v26
	v_dot2_f32_f16 v44, v6, v16, v44
	v_dot2_f32_f16 v46, v6, v17, v46
	v_dot2_f32_f16 v47, v6, v18, v47
	v_dot2_f32_f16 v27, v6, v19, v27
	v_dot2_f32_f16 v29, v7, v16, v29
	v_dot2_f32_f16 v30, v7, v17, v30
	ds_load_b128 v[12:15], v23 offset:29440
	v_dot2_f32_f16 v31, v7, v18, v31
	v_dot2_f32_f16 v28, v7, v19, v28
	ds_load_b128 v[4:7], v22 offset:13056
	s_wait_dscnt 0x2
	v_dot2_f32_f16 v32, v0, v8, v32
	v_dot2_f32_f16 v33, v0, v9, v33
	;; [unrolled: 1-line block ×16, first 2 shown]
	s_wait_dscnt 0x1
	v_dot2_f32_f16 v69, v0, v12, v69
	v_dot2_f32_f16 v70, v0, v13, v70
	;; [unrolled: 1-line block ×16, first 2 shown]
	ds_load_b128 v[0:3], v22 offset:13312
	s_wait_dscnt 0x1
	v_dot2_f32_f16 v79, v4, v8, v79
	v_dot2_f32_f16 v80, v4, v9, v80
	;; [unrolled: 1-line block ×15, first 2 shown]
	ds_load_b128 v[16:19], v23 offset:29696
	v_dot2_f32_f16 v24, v7, v11, v24
	v_dot2_f32_f16 v40, v4, v12, v40
	;; [unrolled: 1-line block ×15, first 2 shown]
	ds_load_b128 v[8:11], v23 offset:29952
	v_dot2_f32_f16 v31, v7, v14, v31
	v_dot2_f32_f16 v28, v7, v15, v28
	ds_load_b128 v[4:7], v22 offset:13568
	s_wait_dscnt 0x2
	v_dot2_f32_f16 v32, v0, v16, v32
	v_dot2_f32_f16 v33, v0, v17, v33
	v_dot2_f32_f16 v34, v0, v18, v34
	v_dot2_f32_f16 v35, v0, v19, v35
	v_dot2_f32_f16 v36, v1, v16, v36
	v_dot2_f32_f16 v48, v1, v17, v48
	v_dot2_f32_f16 v49, v1, v18, v49
	v_dot2_f32_f16 v53, v1, v19, v53
	v_dot2_f32_f16 v54, v2, v16, v54
	v_dot2_f32_f16 v56, v2, v17, v56
	v_dot2_f32_f16 v57, v2, v18, v57
	v_dot2_f32_f16 v68, v2, v19, v68
	v_dot2_f32_f16 v65, v3, v16, v65
	v_dot2_f32_f16 v59, v3, v17, v59
	v_dot2_f32_f16 v58, v3, v18, v58
	v_dot2_f32_f16 v55, v3, v19, v55
	s_wait_dscnt 0x1
	v_dot2_f32_f16 v69, v0, v8, v69
	v_dot2_f32_f16 v70, v0, v9, v70
	;; [unrolled: 1-line block ×16, first 2 shown]
	ds_load_b128 v[0:3], v22 offset:13824
	s_wait_dscnt 0x1
	v_dot2_f32_f16 v79, v4, v16, v79
	v_dot2_f32_f16 v80, v4, v17, v80
	;; [unrolled: 1-line block ×15, first 2 shown]
	ds_load_b128 v[12:15], v23 offset:30208
	v_dot2_f32_f16 v24, v7, v19, v24
	v_dot2_f32_f16 v40, v4, v8, v40
	;; [unrolled: 1-line block ×15, first 2 shown]
	ds_load_b128 v[16:19], v23 offset:30464
	v_dot2_f32_f16 v31, v7, v10, v31
	v_dot2_f32_f16 v28, v7, v11, v28
	ds_load_b128 v[4:7], v22 offset:14080
	s_wait_dscnt 0x2
	v_dot2_f32_f16 v32, v0, v12, v32
	v_dot2_f32_f16 v33, v0, v13, v33
	;; [unrolled: 1-line block ×16, first 2 shown]
	s_wait_dscnt 0x1
	v_dot2_f32_f16 v69, v0, v16, v69
	v_dot2_f32_f16 v70, v0, v17, v70
	;; [unrolled: 1-line block ×16, first 2 shown]
	ds_load_b128 v[0:3], v22 offset:14336
	s_wait_dscnt 0x1
	v_dot2_f32_f16 v79, v4, v12, v79
	v_dot2_f32_f16 v80, v4, v13, v80
	;; [unrolled: 1-line block ×15, first 2 shown]
	ds_load_b128 v[8:11], v23 offset:30720
	v_dot2_f32_f16 v24, v7, v15, v24
	v_dot2_f32_f16 v40, v4, v16, v40
	;; [unrolled: 1-line block ×15, first 2 shown]
	ds_load_b128 v[12:15], v23 offset:30976
	v_dot2_f32_f16 v31, v7, v18, v31
	v_dot2_f32_f16 v28, v7, v19, v28
	ds_load_b128 v[4:7], v22 offset:14592
	s_wait_dscnt 0x2
	v_dot2_f32_f16 v32, v0, v8, v32
	v_dot2_f32_f16 v33, v0, v9, v33
	;; [unrolled: 1-line block ×16, first 2 shown]
	s_wait_dscnt 0x1
	v_dot2_f32_f16 v69, v0, v12, v69
	v_dot2_f32_f16 v70, v0, v13, v70
	;; [unrolled: 1-line block ×16, first 2 shown]
	ds_load_b128 v[0:3], v22 offset:14848
	s_wait_dscnt 0x1
	v_dot2_f32_f16 v79, v4, v8, v79
	v_dot2_f32_f16 v80, v4, v9, v80
	;; [unrolled: 1-line block ×15, first 2 shown]
	ds_load_b128 v[16:19], v23 offset:31232
	v_dot2_f32_f16 v24, v7, v11, v24
	v_dot2_f32_f16 v40, v4, v12, v40
	;; [unrolled: 1-line block ×15, first 2 shown]
	ds_load_b128 v[8:11], v23 offset:31488
	v_dot2_f32_f16 v31, v7, v14, v31
	v_dot2_f32_f16 v28, v7, v15, v28
	ds_load_b128 v[4:7], v22 offset:15104
	s_wait_dscnt 0x2
	v_dot2_f32_f16 v32, v0, v16, v32
	v_dot2_f32_f16 v33, v0, v17, v33
	;; [unrolled: 1-line block ×16, first 2 shown]
	s_wait_dscnt 0x1
	v_dot2_f32_f16 v69, v0, v8, v69
	v_dot2_f32_f16 v70, v0, v9, v70
	;; [unrolled: 1-line block ×16, first 2 shown]
	ds_load_b128 v[0:3], v22 offset:15360
	s_wait_dscnt 0x1
	v_dot2_f32_f16 v79, v4, v16, v79
	v_dot2_f32_f16 v80, v4, v17, v80
	;; [unrolled: 1-line block ×15, first 2 shown]
	ds_load_b128 v[12:15], v23 offset:31744
	v_dot2_f32_f16 v24, v7, v19, v24
	v_dot2_f32_f16 v40, v4, v8, v40
	;; [unrolled: 1-line block ×15, first 2 shown]
	ds_load_b128 v[16:19], v23 offset:32000
	v_dot2_f32_f16 v31, v7, v10, v31
	v_dot2_f32_f16 v28, v7, v11, v28
	ds_load_b128 v[4:7], v22 offset:15616
	s_wait_dscnt 0x2
	v_dot2_f32_f16 v32, v0, v12, v32
	v_dot2_f32_f16 v33, v0, v13, v33
	;; [unrolled: 1-line block ×16, first 2 shown]
	s_wait_dscnt 0x1
	v_dot2_f32_f16 v69, v0, v16, v69
	v_dot2_f32_f16 v70, v0, v17, v70
	;; [unrolled: 1-line block ×16, first 2 shown]
	ds_load_b128 v[0:3], v22 offset:15872
	s_wait_dscnt 0x1
	v_dot2_f32_f16 v79, v4, v12, v79
	v_dot2_f32_f16 v80, v4, v13, v80
	;; [unrolled: 1-line block ×15, first 2 shown]
	ds_load_b128 v[8:11], v23 offset:32256
	v_dot2_f32_f16 v24, v7, v15, v24
	ds_load_b128 v[12:15], v23 offset:32512
	v_dot2_f32_f16 v40, v4, v16, v40
	v_dot2_f32_f16 v62, v4, v17, v62
	;; [unrolled: 1-line block ×16, first 2 shown]
	ds_load_b128 v[4:7], v22 offset:16128
	s_wait_dscnt 0x2
	v_dot2_f32_f16 v22, v0, v8, v32
	v_dot2_f32_f16 v23, v0, v9, v33
	;; [unrolled: 1-line block ×11, first 2 shown]
	s_wait_dscnt 0x1
	v_dot2_f32_f16 v56, v0, v12, v69
	v_dot2_f32_f16 v57, v0, v13, v70
	;; [unrolled: 1-line block ×4, first 2 shown]
	v_add_nc_u32_e32 v0, s16, v21
	v_dot2_f32_f16 v31, v1, v9, v48
	v_dot2_f32_f16 v32, v1, v10, v49
	;; [unrolled: 1-line block ×4, first 2 shown]
	v_mul_lo_u32 v0, v0, s18
	v_dot2_f32_f16 v55, v3, v11, v55
	v_dot2_f32_f16 v65, v1, v12, v71
	;; [unrolled: 1-line block ×13, first 2 shown]
	s_wait_dscnt 0x0
	v_dot2_f32_f16 v73, v4, v8, v79
	v_dot2_f32_f16 v74, v4, v9, v80
	;; [unrolled: 1-line block ×24, first 2 shown]
	v_cvt_f16_f32_e32 v2, v22
	v_cvt_f16_f32_e32 v1, v28
	;; [unrolled: 1-line block ×4, first 2 shown]
	v_add3_u32 v5, s3, v20, v0
	s_mov_b32 s3, 0x31004000
	v_dot2_f32_f16 v42, v6, v12, v44
	v_pack_b32_f16 v1, v1, v3
	v_pack_b32_f16 v0, v2, v4
	v_lshlrev_b32_e32 v2, 1, v5
	v_add_nc_u32_e32 v4, 64, v5
	v_cvt_f16_f32_e32 v3, v59
	v_dot2_f32_f16 v43, v6, v13, v46
	v_dot2_f32_f16 v44, v6, v14, v47
	buffer_store_b64 v[0:1], v2, s[0:3], null offen
	v_cvt_f16_f32_e32 v0, v56
	v_cvt_f16_f32_e32 v2, v57
	v_cvt_f16_f32_e32 v1, v58
	v_dot2_f32_f16 v6, v6, v15, v27
	v_dot2_f32_f16 v12, v7, v12, v16
	;; [unrolled: 1-line block ×5, first 2 shown]
	v_cvt_f16_f32_e32 v15, v65
	v_cvt_f16_f32_e32 v16, v66
	v_cvt_f16_f32_e32 v17, v68
	v_cvt_f16_f32_e32 v18, v67
	v_pack_b32_f16 v1, v1, v3
	v_pack_b32_f16 v0, v0, v2
	v_lshlrev_b32_e32 v19, 1, v4
	v_pack_b32_f16 v3, v16, v17
	v_pack_b32_f16 v2, v15, v18
	v_add_lshl_u32 v4, v4, s18, 1
	v_cvt_f16_f32_e32 v16, v32
	v_cvt_f16_f32_e32 v17, v33
	s_clause 0x1
	buffer_store_b64 v[0:1], v19, s[0:3], null offen
	buffer_store_b64 v[2:3], v4, s[0:3], null offen
	v_add_nc_u32_e32 v2, s18, v5
	v_cvt_f16_f32_e32 v15, v30
	v_cvt_f16_f32_e32 v18, v31
	v_pack_b32_f16 v1, v16, v17
	v_cvt_f16_f32_e32 v3, v36
	v_cvt_f16_f32_e32 v4, v48
	v_add_nc_u32_e32 v16, s18, v2
	v_pack_b32_f16 v0, v15, v18
	v_lshlrev_b32_e32 v15, 1, v2
	v_cvt_f16_f32_e32 v2, v34
	v_cvt_f16_f32_e32 v5, v35
	v_pack_b32_f16 v3, v3, v4
	v_cvt_f16_f32_e32 v4, v52
	v_cvt_f16_f32_e32 v17, v50
	;; [unrolled: 1-line block ×4, first 2 shown]
	v_add_nc_u32_e32 v20, 64, v16
	v_pack_b32_f16 v2, v2, v5
	v_lshlrev_b32_e32 v22, 1, v16
	v_pack_b32_f16 v5, v17, v18
	v_pack_b32_f16 v4, v4, v19
	v_lshlrev_b32_e32 v17, 1, v20
	s_clause 0x2
	buffer_store_b64 v[0:1], v15, s[0:3], null offen
	buffer_store_b64 v[2:3], v22, s[0:3], null offen
	;; [unrolled: 1-line block ×3, first 2 shown]
	v_add_nc_u32_e32 v4, s18, v16
	v_cvt_f16_f32_e32 v18, v41
	v_cvt_f16_f32_e32 v19, v71
	;; [unrolled: 1-line block ×12, first 2 shown]
	v_lshl_add_u32 v17, s18, 6, v4
	v_pack_b32_f16 v1, v19, v23
	v_pack_b32_f16 v0, v18, v27
	v_add_lshl_u32 v15, v20, s18, 1
	v_pack_b32_f16 v3, v2, v3
	v_pack_b32_f16 v2, v5, v16
	v_lshlrev_b32_e32 v16, 1, v4
	v_pack_b32_f16 v5, v10, v11
	v_pack_b32_f16 v4, v8, v9
	v_lshlrev_b32_e32 v8, 1, v17
	s_clause 0x1
	buffer_store_b64 v[0:1], v15, s[0:3], null offen
	buffer_store_b64 v[2:3], v16, s[0:3], null offen
	v_add_nc_u32_e32 v2, 64, v17
	v_cvt_f16_f32_e32 v0, v14
	v_cvt_f16_f32_e32 v1, v7
	buffer_store_b64 v[4:5], v8, s[0:3], null offen
	v_cvt_f16_f32_e32 v3, v12
	v_cvt_f16_f32_e32 v4, v13
	;; [unrolled: 1-line block ×6, first 2 shown]
	v_subrev_nc_u32_e32 v9, s18, v2
	v_pack_b32_f16 v1, v0, v1
	v_pack_b32_f16 v0, v3, v4
	v_lshlrev_b32_e32 v4, 1, v2
	v_pack_b32_f16 v3, v7, v6
	v_pack_b32_f16 v2, v5, v8
	v_lshlrev_b32_e32 v5, 1, v9
	s_clause 0x1
	buffer_store_b64 v[0:1], v4, s[0:3], null offen
	buffer_store_b64 v[2:3], v5, s[0:3], null offen
	v_subrev_nc_u32_e32 v2, 64, v9
	v_cvt_f16_f32_e32 v6, v81
	v_cvt_f16_f32_e32 v10, v45
	;; [unrolled: 1-line block ×4, first 2 shown]
	v_subrev_nc_u32_e32 v5, s18, v2
	v_cvt_f16_f32_e32 v3, v79
	v_cvt_f16_f32_e32 v4, v80
	v_pack_b32_f16 v0, v6, v10
	v_lshlrev_b32_e32 v10, 1, v2
	v_cvt_f16_f32_e32 v2, v77
	v_cvt_f16_f32_e32 v6, v78
	v_add_nc_u32_e32 v11, 64, v5
	v_pack_b32_f16 v1, v7, v8
	v_pack_b32_f16 v3, v3, v4
	v_cvt_f16_f32_e32 v4, v39
	v_cvt_f16_f32_e32 v7, v21
	;; [unrolled: 1-line block ×4, first 2 shown]
	v_pack_b32_f16 v2, v2, v6
	v_subrev_nc_u32_e32 v6, s18, v11
	v_lshlrev_b32_e32 v12, 1, v5
	v_pack_b32_f16 v5, v7, v8
	v_pack_b32_f16 v4, v4, v9
	v_lshlrev_b32_e32 v13, 1, v11
	v_cvt_f16_f32_e32 v8, v24
	v_cvt_f16_f32_e32 v9, v37
	;; [unrolled: 1-line block ×8, first 2 shown]
	v_lshlrev_b32_e32 v18, 1, v6
	v_pack_b32_f16 v7, v7, v11
	v_pack_b32_f16 v6, v8, v9
	;; [unrolled: 1-line block ×4, first 2 shown]
	v_add_nc_u32_e32 v11, 0xffffff80, v18
	s_clause 0x4
	buffer_store_b64 v[0:1], v10, s[0:3], null offen
	buffer_store_b64 v[2:3], v12, s[0:3], null offen
	;; [unrolled: 1-line block ×5, first 2 shown]
	s_nop 0
	s_sendmsg sendmsg(MSG_DEALLOC_VGPRS)
	s_endpgm
	.section	.rodata,"a",@progbits
	.p2align	6, 0x0
	.amdhsa_kernel _ZN2ck19kernel_gemm_dl_v1r3INS_28GridwiseGemmDl_km_kn_mn_v1r3ILi256EDF16_fDF16_LNS_25InMemoryDataOperationEnumE0ENS_16TensorDescriptorINS_5TupleIJNS_5EmbedINS4_IJiiEEENS4_IJNS_17integral_constantIiLi1EEEiEEELb0EEENS_7UnMergeINS4_IJiNS7_IiLi2EEEEEELb0EEENS_11PassThroughIiEEEEENS4_IJNS_8SequenceIJLi0EEEENSI_IJLi2EEEENSI_IJLi1EEEEEEENS4_IJNSI_IJLi1ELi2EEEENSI_IJLi3ELi4EEEENSI_IJLi5EEEEEEENSI_IJLi3ELi5ELi4EEEElEENS3_INS4_IJNS5_IS6_NS4_IJiS8_EEELb0EEESE_SG_EEENS4_IJSJ_SL_SK_EEESQ_SR_lEENS3_INS4_IJSU_SG_SG_EEESW_NS4_IJSN_NSI_IJLi3EEEENSI_IJLi4EEEEEEESO_lEELi128ELi128ELi16ELi2ELi4ELi4ELi1ENSI_IJLi8ELi2EEEES13_NSI_IJLi2ELi1ELi4ELi2EEEENSI_IJLi8ELi1ELi32ELi1EEEENSI_IJLi0ELi3ELi1ELi2EEEES16_NSI_IJLi1ELi1ELi4ELi1EEEES16_NSI_IJLi1ELi1ELi4ELi2EEEES14_S15_S16_S16_S17_S16_S18_NSI_IJLi0ELi1ELi2ELi3ELi4ELi5EEEELi5ELi4EEEDF16_DF16_NS3_INS4_IJSA_SE_SG_SG_NSB_INS4_IJiNS7_IiLi128EEEEEELb0EEENSF_ISC_EEEEENS4_IJSJ_SK_SL_SZ_SP_S10_EEENS4_IJSN_SO_SP_NSI_IJLi6EEEENSI_IJLi7ELi8EEEENSI_IJLi9EEEEEEENSI_IJLi6ELi7ELi8ELi9EEEElEENS3_INS4_IJSU_SE_SG_SG_S1D_S1E_EEENS4_IJSJ_SL_SK_SZ_SP_S10_EEES1K_S1L_lEENS3_INS4_IJSU_SG_SG_NSB_INS4_IJiSC_NS7_IiLi64EEEEEELb0EEES1S_EEENS4_IJSJ_SL_SK_SZ_S10_EEENS4_IJSN_SZ_S10_NSI_IJLi5ELi6ELi7EEEENSI_IJLi8ELi9ELi10EEEEEEENSI_IJLi5ELi6ELi7ELi8ELi9ELi10EEEElEENS_31BlockToCTileMap_M00_N00_M01_N01ILi128ELi128ES12_Lb0EEELb1ELb1EEEvPKT0_S24_PT1_T2_T3_T4_T5_
		.amdhsa_group_segment_fixed_size 32768
		.amdhsa_private_segment_fixed_size 0
		.amdhsa_kernarg_size 328
		.amdhsa_user_sgpr_count 2
		.amdhsa_user_sgpr_dispatch_ptr 0
		.amdhsa_user_sgpr_queue_ptr 0
		.amdhsa_user_sgpr_kernarg_segment_ptr 1
		.amdhsa_user_sgpr_dispatch_id 0
		.amdhsa_user_sgpr_private_segment_size 0
		.amdhsa_wavefront_size32 1
		.amdhsa_uses_dynamic_stack 0
		.amdhsa_enable_private_segment 0
		.amdhsa_system_sgpr_workgroup_id_x 1
		.amdhsa_system_sgpr_workgroup_id_y 0
		.amdhsa_system_sgpr_workgroup_id_z 0
		.amdhsa_system_sgpr_workgroup_info 0
		.amdhsa_system_vgpr_workitem_id 0
		.amdhsa_next_free_vgpr 203
		.amdhsa_next_free_sgpr 41
		.amdhsa_reserve_vcc 0
		.amdhsa_float_round_mode_32 0
		.amdhsa_float_round_mode_16_64 0
		.amdhsa_float_denorm_mode_32 3
		.amdhsa_float_denorm_mode_16_64 3
		.amdhsa_fp16_overflow 0
		.amdhsa_workgroup_processor_mode 1
		.amdhsa_memory_ordered 1
		.amdhsa_forward_progress 1
		.amdhsa_inst_pref_size 255
		.amdhsa_round_robin_scheduling 0
		.amdhsa_exception_fp_ieee_invalid_op 0
		.amdhsa_exception_fp_denorm_src 0
		.amdhsa_exception_fp_ieee_div_zero 0
		.amdhsa_exception_fp_ieee_overflow 0
		.amdhsa_exception_fp_ieee_underflow 0
		.amdhsa_exception_fp_ieee_inexact 0
		.amdhsa_exception_int_div_zero 0
	.end_amdhsa_kernel
	.section	.text._ZN2ck19kernel_gemm_dl_v1r3INS_28GridwiseGemmDl_km_kn_mn_v1r3ILi256EDF16_fDF16_LNS_25InMemoryDataOperationEnumE0ENS_16TensorDescriptorINS_5TupleIJNS_5EmbedINS4_IJiiEEENS4_IJNS_17integral_constantIiLi1EEEiEEELb0EEENS_7UnMergeINS4_IJiNS7_IiLi2EEEEEELb0EEENS_11PassThroughIiEEEEENS4_IJNS_8SequenceIJLi0EEEENSI_IJLi2EEEENSI_IJLi1EEEEEEENS4_IJNSI_IJLi1ELi2EEEENSI_IJLi3ELi4EEEENSI_IJLi5EEEEEEENSI_IJLi3ELi5ELi4EEEElEENS3_INS4_IJNS5_IS6_NS4_IJiS8_EEELb0EEESE_SG_EEENS4_IJSJ_SL_SK_EEESQ_SR_lEENS3_INS4_IJSU_SG_SG_EEESW_NS4_IJSN_NSI_IJLi3EEEENSI_IJLi4EEEEEEESO_lEELi128ELi128ELi16ELi2ELi4ELi4ELi1ENSI_IJLi8ELi2EEEES13_NSI_IJLi2ELi1ELi4ELi2EEEENSI_IJLi8ELi1ELi32ELi1EEEENSI_IJLi0ELi3ELi1ELi2EEEES16_NSI_IJLi1ELi1ELi4ELi1EEEES16_NSI_IJLi1ELi1ELi4ELi2EEEES14_S15_S16_S16_S17_S16_S18_NSI_IJLi0ELi1ELi2ELi3ELi4ELi5EEEELi5ELi4EEEDF16_DF16_NS3_INS4_IJSA_SE_SG_SG_NSB_INS4_IJiNS7_IiLi128EEEEEELb0EEENSF_ISC_EEEEENS4_IJSJ_SK_SL_SZ_SP_S10_EEENS4_IJSN_SO_SP_NSI_IJLi6EEEENSI_IJLi7ELi8EEEENSI_IJLi9EEEEEEENSI_IJLi6ELi7ELi8ELi9EEEElEENS3_INS4_IJSU_SE_SG_SG_S1D_S1E_EEENS4_IJSJ_SL_SK_SZ_SP_S10_EEES1K_S1L_lEENS3_INS4_IJSU_SG_SG_NSB_INS4_IJiSC_NS7_IiLi64EEEEEELb0EEES1S_EEENS4_IJSJ_SL_SK_SZ_S10_EEENS4_IJSN_SZ_S10_NSI_IJLi5ELi6ELi7EEEENSI_IJLi8ELi9ELi10EEEEEEENSI_IJLi5ELi6ELi7ELi8ELi9ELi10EEEElEENS_31BlockToCTileMap_M00_N00_M01_N01ILi128ELi128ES12_Lb0EEELb1ELb1EEEvPKT0_S24_PT1_T2_T3_T4_T5_,"axG",@progbits,_ZN2ck19kernel_gemm_dl_v1r3INS_28GridwiseGemmDl_km_kn_mn_v1r3ILi256EDF16_fDF16_LNS_25InMemoryDataOperationEnumE0ENS_16TensorDescriptorINS_5TupleIJNS_5EmbedINS4_IJiiEEENS4_IJNS_17integral_constantIiLi1EEEiEEELb0EEENS_7UnMergeINS4_IJiNS7_IiLi2EEEEEELb0EEENS_11PassThroughIiEEEEENS4_IJNS_8SequenceIJLi0EEEENSI_IJLi2EEEENSI_IJLi1EEEEEEENS4_IJNSI_IJLi1ELi2EEEENSI_IJLi3ELi4EEEENSI_IJLi5EEEEEEENSI_IJLi3ELi5ELi4EEEElEENS3_INS4_IJNS5_IS6_NS4_IJiS8_EEELb0EEESE_SG_EEENS4_IJSJ_SL_SK_EEESQ_SR_lEENS3_INS4_IJSU_SG_SG_EEESW_NS4_IJSN_NSI_IJLi3EEEENSI_IJLi4EEEEEEESO_lEELi128ELi128ELi16ELi2ELi4ELi4ELi1ENSI_IJLi8ELi2EEEES13_NSI_IJLi2ELi1ELi4ELi2EEEENSI_IJLi8ELi1ELi32ELi1EEEENSI_IJLi0ELi3ELi1ELi2EEEES16_NSI_IJLi1ELi1ELi4ELi1EEEES16_NSI_IJLi1ELi1ELi4ELi2EEEES14_S15_S16_S16_S17_S16_S18_NSI_IJLi0ELi1ELi2ELi3ELi4ELi5EEEELi5ELi4EEEDF16_DF16_NS3_INS4_IJSA_SE_SG_SG_NSB_INS4_IJiNS7_IiLi128EEEEEELb0EEENSF_ISC_EEEEENS4_IJSJ_SK_SL_SZ_SP_S10_EEENS4_IJSN_SO_SP_NSI_IJLi6EEEENSI_IJLi7ELi8EEEENSI_IJLi9EEEEEEENSI_IJLi6ELi7ELi8ELi9EEEElEENS3_INS4_IJSU_SE_SG_SG_S1D_S1E_EEENS4_IJSJ_SL_SK_SZ_SP_S10_EEES1K_S1L_lEENS3_INS4_IJSU_SG_SG_NSB_INS4_IJiSC_NS7_IiLi64EEEEEELb0EEES1S_EEENS4_IJSJ_SL_SK_SZ_S10_EEENS4_IJSN_SZ_S10_NSI_IJLi5ELi6ELi7EEEENSI_IJLi8ELi9ELi10EEEEEEENSI_IJLi5ELi6ELi7ELi8ELi9ELi10EEEElEENS_31BlockToCTileMap_M00_N00_M01_N01ILi128ELi128ES12_Lb0EEELb1ELb1EEEvPKT0_S24_PT1_T2_T3_T4_T5_,comdat
.Lfunc_end1:
	.size	_ZN2ck19kernel_gemm_dl_v1r3INS_28GridwiseGemmDl_km_kn_mn_v1r3ILi256EDF16_fDF16_LNS_25InMemoryDataOperationEnumE0ENS_16TensorDescriptorINS_5TupleIJNS_5EmbedINS4_IJiiEEENS4_IJNS_17integral_constantIiLi1EEEiEEELb0EEENS_7UnMergeINS4_IJiNS7_IiLi2EEEEEELb0EEENS_11PassThroughIiEEEEENS4_IJNS_8SequenceIJLi0EEEENSI_IJLi2EEEENSI_IJLi1EEEEEEENS4_IJNSI_IJLi1ELi2EEEENSI_IJLi3ELi4EEEENSI_IJLi5EEEEEEENSI_IJLi3ELi5ELi4EEEElEENS3_INS4_IJNS5_IS6_NS4_IJiS8_EEELb0EEESE_SG_EEENS4_IJSJ_SL_SK_EEESQ_SR_lEENS3_INS4_IJSU_SG_SG_EEESW_NS4_IJSN_NSI_IJLi3EEEENSI_IJLi4EEEEEEESO_lEELi128ELi128ELi16ELi2ELi4ELi4ELi1ENSI_IJLi8ELi2EEEES13_NSI_IJLi2ELi1ELi4ELi2EEEENSI_IJLi8ELi1ELi32ELi1EEEENSI_IJLi0ELi3ELi1ELi2EEEES16_NSI_IJLi1ELi1ELi4ELi1EEEES16_NSI_IJLi1ELi1ELi4ELi2EEEES14_S15_S16_S16_S17_S16_S18_NSI_IJLi0ELi1ELi2ELi3ELi4ELi5EEEELi5ELi4EEEDF16_DF16_NS3_INS4_IJSA_SE_SG_SG_NSB_INS4_IJiNS7_IiLi128EEEEEELb0EEENSF_ISC_EEEEENS4_IJSJ_SK_SL_SZ_SP_S10_EEENS4_IJSN_SO_SP_NSI_IJLi6EEEENSI_IJLi7ELi8EEEENSI_IJLi9EEEEEEENSI_IJLi6ELi7ELi8ELi9EEEElEENS3_INS4_IJSU_SE_SG_SG_S1D_S1E_EEENS4_IJSJ_SL_SK_SZ_SP_S10_EEES1K_S1L_lEENS3_INS4_IJSU_SG_SG_NSB_INS4_IJiSC_NS7_IiLi64EEEEEELb0EEES1S_EEENS4_IJSJ_SL_SK_SZ_S10_EEENS4_IJSN_SZ_S10_NSI_IJLi5ELi6ELi7EEEENSI_IJLi8ELi9ELi10EEEEEEENSI_IJLi5ELi6ELi7ELi8ELi9ELi10EEEElEENS_31BlockToCTileMap_M00_N00_M01_N01ILi128ELi128ES12_Lb0EEELb1ELb1EEEvPKT0_S24_PT1_T2_T3_T4_T5_, .Lfunc_end1-_ZN2ck19kernel_gemm_dl_v1r3INS_28GridwiseGemmDl_km_kn_mn_v1r3ILi256EDF16_fDF16_LNS_25InMemoryDataOperationEnumE0ENS_16TensorDescriptorINS_5TupleIJNS_5EmbedINS4_IJiiEEENS4_IJNS_17integral_constantIiLi1EEEiEEELb0EEENS_7UnMergeINS4_IJiNS7_IiLi2EEEEEELb0EEENS_11PassThroughIiEEEEENS4_IJNS_8SequenceIJLi0EEEENSI_IJLi2EEEENSI_IJLi1EEEEEEENS4_IJNSI_IJLi1ELi2EEEENSI_IJLi3ELi4EEEENSI_IJLi5EEEEEEENSI_IJLi3ELi5ELi4EEEElEENS3_INS4_IJNS5_IS6_NS4_IJiS8_EEELb0EEESE_SG_EEENS4_IJSJ_SL_SK_EEESQ_SR_lEENS3_INS4_IJSU_SG_SG_EEESW_NS4_IJSN_NSI_IJLi3EEEENSI_IJLi4EEEEEEESO_lEELi128ELi128ELi16ELi2ELi4ELi4ELi1ENSI_IJLi8ELi2EEEES13_NSI_IJLi2ELi1ELi4ELi2EEEENSI_IJLi8ELi1ELi32ELi1EEEENSI_IJLi0ELi3ELi1ELi2EEEES16_NSI_IJLi1ELi1ELi4ELi1EEEES16_NSI_IJLi1ELi1ELi4ELi2EEEES14_S15_S16_S16_S17_S16_S18_NSI_IJLi0ELi1ELi2ELi3ELi4ELi5EEEELi5ELi4EEEDF16_DF16_NS3_INS4_IJSA_SE_SG_SG_NSB_INS4_IJiNS7_IiLi128EEEEEELb0EEENSF_ISC_EEEEENS4_IJSJ_SK_SL_SZ_SP_S10_EEENS4_IJSN_SO_SP_NSI_IJLi6EEEENSI_IJLi7ELi8EEEENSI_IJLi9EEEEEEENSI_IJLi6ELi7ELi8ELi9EEEElEENS3_INS4_IJSU_SE_SG_SG_S1D_S1E_EEENS4_IJSJ_SL_SK_SZ_SP_S10_EEES1K_S1L_lEENS3_INS4_IJSU_SG_SG_NSB_INS4_IJiSC_NS7_IiLi64EEEEEELb0EEES1S_EEENS4_IJSJ_SL_SK_SZ_S10_EEENS4_IJSN_SZ_S10_NSI_IJLi5ELi6ELi7EEEENSI_IJLi8ELi9ELi10EEEEEEENSI_IJLi5ELi6ELi7ELi8ELi9ELi10EEEElEENS_31BlockToCTileMap_M00_N00_M01_N01ILi128ELi128ES12_Lb0EEELb1ELb1EEEvPKT0_S24_PT1_T2_T3_T4_T5_
                                        ; -- End function
	.set _ZN2ck19kernel_gemm_dl_v1r3INS_28GridwiseGemmDl_km_kn_mn_v1r3ILi256EDF16_fDF16_LNS_25InMemoryDataOperationEnumE0ENS_16TensorDescriptorINS_5TupleIJNS_5EmbedINS4_IJiiEEENS4_IJNS_17integral_constantIiLi1EEEiEEELb0EEENS_7UnMergeINS4_IJiNS7_IiLi2EEEEEELb0EEENS_11PassThroughIiEEEEENS4_IJNS_8SequenceIJLi0EEEENSI_IJLi2EEEENSI_IJLi1EEEEEEENS4_IJNSI_IJLi1ELi2EEEENSI_IJLi3ELi4EEEENSI_IJLi5EEEEEEENSI_IJLi3ELi5ELi4EEEElEENS3_INS4_IJNS5_IS6_NS4_IJiS8_EEELb0EEESE_SG_EEENS4_IJSJ_SL_SK_EEESQ_SR_lEENS3_INS4_IJSU_SG_SG_EEESW_NS4_IJSN_NSI_IJLi3EEEENSI_IJLi4EEEEEEESO_lEELi128ELi128ELi16ELi2ELi4ELi4ELi1ENSI_IJLi8ELi2EEEES13_NSI_IJLi2ELi1ELi4ELi2EEEENSI_IJLi8ELi1ELi32ELi1EEEENSI_IJLi0ELi3ELi1ELi2EEEES16_NSI_IJLi1ELi1ELi4ELi1EEEES16_NSI_IJLi1ELi1ELi4ELi2EEEES14_S15_S16_S16_S17_S16_S18_NSI_IJLi0ELi1ELi2ELi3ELi4ELi5EEEELi5ELi4EEEDF16_DF16_NS3_INS4_IJSA_SE_SG_SG_NSB_INS4_IJiNS7_IiLi128EEEEEELb0EEENSF_ISC_EEEEENS4_IJSJ_SK_SL_SZ_SP_S10_EEENS4_IJSN_SO_SP_NSI_IJLi6EEEENSI_IJLi7ELi8EEEENSI_IJLi9EEEEEEENSI_IJLi6ELi7ELi8ELi9EEEElEENS3_INS4_IJSU_SE_SG_SG_S1D_S1E_EEENS4_IJSJ_SL_SK_SZ_SP_S10_EEES1K_S1L_lEENS3_INS4_IJSU_SG_SG_NSB_INS4_IJiSC_NS7_IiLi64EEEEEELb0EEES1S_EEENS4_IJSJ_SL_SK_SZ_S10_EEENS4_IJSN_SZ_S10_NSI_IJLi5ELi6ELi7EEEENSI_IJLi8ELi9ELi10EEEEEEENSI_IJLi5ELi6ELi7ELi8ELi9ELi10EEEElEENS_31BlockToCTileMap_M00_N00_M01_N01ILi128ELi128ES12_Lb0EEELb1ELb1EEEvPKT0_S24_PT1_T2_T3_T4_T5_.num_vgpr, 203
	.set _ZN2ck19kernel_gemm_dl_v1r3INS_28GridwiseGemmDl_km_kn_mn_v1r3ILi256EDF16_fDF16_LNS_25InMemoryDataOperationEnumE0ENS_16TensorDescriptorINS_5TupleIJNS_5EmbedINS4_IJiiEEENS4_IJNS_17integral_constantIiLi1EEEiEEELb0EEENS_7UnMergeINS4_IJiNS7_IiLi2EEEEEELb0EEENS_11PassThroughIiEEEEENS4_IJNS_8SequenceIJLi0EEEENSI_IJLi2EEEENSI_IJLi1EEEEEEENS4_IJNSI_IJLi1ELi2EEEENSI_IJLi3ELi4EEEENSI_IJLi5EEEEEEENSI_IJLi3ELi5ELi4EEEElEENS3_INS4_IJNS5_IS6_NS4_IJiS8_EEELb0EEESE_SG_EEENS4_IJSJ_SL_SK_EEESQ_SR_lEENS3_INS4_IJSU_SG_SG_EEESW_NS4_IJSN_NSI_IJLi3EEEENSI_IJLi4EEEEEEESO_lEELi128ELi128ELi16ELi2ELi4ELi4ELi1ENSI_IJLi8ELi2EEEES13_NSI_IJLi2ELi1ELi4ELi2EEEENSI_IJLi8ELi1ELi32ELi1EEEENSI_IJLi0ELi3ELi1ELi2EEEES16_NSI_IJLi1ELi1ELi4ELi1EEEES16_NSI_IJLi1ELi1ELi4ELi2EEEES14_S15_S16_S16_S17_S16_S18_NSI_IJLi0ELi1ELi2ELi3ELi4ELi5EEEELi5ELi4EEEDF16_DF16_NS3_INS4_IJSA_SE_SG_SG_NSB_INS4_IJiNS7_IiLi128EEEEEELb0EEENSF_ISC_EEEEENS4_IJSJ_SK_SL_SZ_SP_S10_EEENS4_IJSN_SO_SP_NSI_IJLi6EEEENSI_IJLi7ELi8EEEENSI_IJLi9EEEEEEENSI_IJLi6ELi7ELi8ELi9EEEElEENS3_INS4_IJSU_SE_SG_SG_S1D_S1E_EEENS4_IJSJ_SL_SK_SZ_SP_S10_EEES1K_S1L_lEENS3_INS4_IJSU_SG_SG_NSB_INS4_IJiSC_NS7_IiLi64EEEEEELb0EEES1S_EEENS4_IJSJ_SL_SK_SZ_S10_EEENS4_IJSN_SZ_S10_NSI_IJLi5ELi6ELi7EEEENSI_IJLi8ELi9ELi10EEEEEEENSI_IJLi5ELi6ELi7ELi8ELi9ELi10EEEElEENS_31BlockToCTileMap_M00_N00_M01_N01ILi128ELi128ES12_Lb0EEELb1ELb1EEEvPKT0_S24_PT1_T2_T3_T4_T5_.num_agpr, 0
	.set _ZN2ck19kernel_gemm_dl_v1r3INS_28GridwiseGemmDl_km_kn_mn_v1r3ILi256EDF16_fDF16_LNS_25InMemoryDataOperationEnumE0ENS_16TensorDescriptorINS_5TupleIJNS_5EmbedINS4_IJiiEEENS4_IJNS_17integral_constantIiLi1EEEiEEELb0EEENS_7UnMergeINS4_IJiNS7_IiLi2EEEEEELb0EEENS_11PassThroughIiEEEEENS4_IJNS_8SequenceIJLi0EEEENSI_IJLi2EEEENSI_IJLi1EEEEEEENS4_IJNSI_IJLi1ELi2EEEENSI_IJLi3ELi4EEEENSI_IJLi5EEEEEEENSI_IJLi3ELi5ELi4EEEElEENS3_INS4_IJNS5_IS6_NS4_IJiS8_EEELb0EEESE_SG_EEENS4_IJSJ_SL_SK_EEESQ_SR_lEENS3_INS4_IJSU_SG_SG_EEESW_NS4_IJSN_NSI_IJLi3EEEENSI_IJLi4EEEEEEESO_lEELi128ELi128ELi16ELi2ELi4ELi4ELi1ENSI_IJLi8ELi2EEEES13_NSI_IJLi2ELi1ELi4ELi2EEEENSI_IJLi8ELi1ELi32ELi1EEEENSI_IJLi0ELi3ELi1ELi2EEEES16_NSI_IJLi1ELi1ELi4ELi1EEEES16_NSI_IJLi1ELi1ELi4ELi2EEEES14_S15_S16_S16_S17_S16_S18_NSI_IJLi0ELi1ELi2ELi3ELi4ELi5EEEELi5ELi4EEEDF16_DF16_NS3_INS4_IJSA_SE_SG_SG_NSB_INS4_IJiNS7_IiLi128EEEEEELb0EEENSF_ISC_EEEEENS4_IJSJ_SK_SL_SZ_SP_S10_EEENS4_IJSN_SO_SP_NSI_IJLi6EEEENSI_IJLi7ELi8EEEENSI_IJLi9EEEEEEENSI_IJLi6ELi7ELi8ELi9EEEElEENS3_INS4_IJSU_SE_SG_SG_S1D_S1E_EEENS4_IJSJ_SL_SK_SZ_SP_S10_EEES1K_S1L_lEENS3_INS4_IJSU_SG_SG_NSB_INS4_IJiSC_NS7_IiLi64EEEEEELb0EEES1S_EEENS4_IJSJ_SL_SK_SZ_S10_EEENS4_IJSN_SZ_S10_NSI_IJLi5ELi6ELi7EEEENSI_IJLi8ELi9ELi10EEEEEEENSI_IJLi5ELi6ELi7ELi8ELi9ELi10EEEElEENS_31BlockToCTileMap_M00_N00_M01_N01ILi128ELi128ES12_Lb0EEELb1ELb1EEEvPKT0_S24_PT1_T2_T3_T4_T5_.numbered_sgpr, 41
	.set _ZN2ck19kernel_gemm_dl_v1r3INS_28GridwiseGemmDl_km_kn_mn_v1r3ILi256EDF16_fDF16_LNS_25InMemoryDataOperationEnumE0ENS_16TensorDescriptorINS_5TupleIJNS_5EmbedINS4_IJiiEEENS4_IJNS_17integral_constantIiLi1EEEiEEELb0EEENS_7UnMergeINS4_IJiNS7_IiLi2EEEEEELb0EEENS_11PassThroughIiEEEEENS4_IJNS_8SequenceIJLi0EEEENSI_IJLi2EEEENSI_IJLi1EEEEEEENS4_IJNSI_IJLi1ELi2EEEENSI_IJLi3ELi4EEEENSI_IJLi5EEEEEEENSI_IJLi3ELi5ELi4EEEElEENS3_INS4_IJNS5_IS6_NS4_IJiS8_EEELb0EEESE_SG_EEENS4_IJSJ_SL_SK_EEESQ_SR_lEENS3_INS4_IJSU_SG_SG_EEESW_NS4_IJSN_NSI_IJLi3EEEENSI_IJLi4EEEEEEESO_lEELi128ELi128ELi16ELi2ELi4ELi4ELi1ENSI_IJLi8ELi2EEEES13_NSI_IJLi2ELi1ELi4ELi2EEEENSI_IJLi8ELi1ELi32ELi1EEEENSI_IJLi0ELi3ELi1ELi2EEEES16_NSI_IJLi1ELi1ELi4ELi1EEEES16_NSI_IJLi1ELi1ELi4ELi2EEEES14_S15_S16_S16_S17_S16_S18_NSI_IJLi0ELi1ELi2ELi3ELi4ELi5EEEELi5ELi4EEEDF16_DF16_NS3_INS4_IJSA_SE_SG_SG_NSB_INS4_IJiNS7_IiLi128EEEEEELb0EEENSF_ISC_EEEEENS4_IJSJ_SK_SL_SZ_SP_S10_EEENS4_IJSN_SO_SP_NSI_IJLi6EEEENSI_IJLi7ELi8EEEENSI_IJLi9EEEEEEENSI_IJLi6ELi7ELi8ELi9EEEElEENS3_INS4_IJSU_SE_SG_SG_S1D_S1E_EEENS4_IJSJ_SL_SK_SZ_SP_S10_EEES1K_S1L_lEENS3_INS4_IJSU_SG_SG_NSB_INS4_IJiSC_NS7_IiLi64EEEEEELb0EEES1S_EEENS4_IJSJ_SL_SK_SZ_S10_EEENS4_IJSN_SZ_S10_NSI_IJLi5ELi6ELi7EEEENSI_IJLi8ELi9ELi10EEEEEEENSI_IJLi5ELi6ELi7ELi8ELi9ELi10EEEElEENS_31BlockToCTileMap_M00_N00_M01_N01ILi128ELi128ES12_Lb0EEELb1ELb1EEEvPKT0_S24_PT1_T2_T3_T4_T5_.num_named_barrier, 0
	.set _ZN2ck19kernel_gemm_dl_v1r3INS_28GridwiseGemmDl_km_kn_mn_v1r3ILi256EDF16_fDF16_LNS_25InMemoryDataOperationEnumE0ENS_16TensorDescriptorINS_5TupleIJNS_5EmbedINS4_IJiiEEENS4_IJNS_17integral_constantIiLi1EEEiEEELb0EEENS_7UnMergeINS4_IJiNS7_IiLi2EEEEEELb0EEENS_11PassThroughIiEEEEENS4_IJNS_8SequenceIJLi0EEEENSI_IJLi2EEEENSI_IJLi1EEEEEEENS4_IJNSI_IJLi1ELi2EEEENSI_IJLi3ELi4EEEENSI_IJLi5EEEEEEENSI_IJLi3ELi5ELi4EEEElEENS3_INS4_IJNS5_IS6_NS4_IJiS8_EEELb0EEESE_SG_EEENS4_IJSJ_SL_SK_EEESQ_SR_lEENS3_INS4_IJSU_SG_SG_EEESW_NS4_IJSN_NSI_IJLi3EEEENSI_IJLi4EEEEEEESO_lEELi128ELi128ELi16ELi2ELi4ELi4ELi1ENSI_IJLi8ELi2EEEES13_NSI_IJLi2ELi1ELi4ELi2EEEENSI_IJLi8ELi1ELi32ELi1EEEENSI_IJLi0ELi3ELi1ELi2EEEES16_NSI_IJLi1ELi1ELi4ELi1EEEES16_NSI_IJLi1ELi1ELi4ELi2EEEES14_S15_S16_S16_S17_S16_S18_NSI_IJLi0ELi1ELi2ELi3ELi4ELi5EEEELi5ELi4EEEDF16_DF16_NS3_INS4_IJSA_SE_SG_SG_NSB_INS4_IJiNS7_IiLi128EEEEEELb0EEENSF_ISC_EEEEENS4_IJSJ_SK_SL_SZ_SP_S10_EEENS4_IJSN_SO_SP_NSI_IJLi6EEEENSI_IJLi7ELi8EEEENSI_IJLi9EEEEEEENSI_IJLi6ELi7ELi8ELi9EEEElEENS3_INS4_IJSU_SE_SG_SG_S1D_S1E_EEENS4_IJSJ_SL_SK_SZ_SP_S10_EEES1K_S1L_lEENS3_INS4_IJSU_SG_SG_NSB_INS4_IJiSC_NS7_IiLi64EEEEEELb0EEES1S_EEENS4_IJSJ_SL_SK_SZ_S10_EEENS4_IJSN_SZ_S10_NSI_IJLi5ELi6ELi7EEEENSI_IJLi8ELi9ELi10EEEEEEENSI_IJLi5ELi6ELi7ELi8ELi9ELi10EEEElEENS_31BlockToCTileMap_M00_N00_M01_N01ILi128ELi128ES12_Lb0EEELb1ELb1EEEvPKT0_S24_PT1_T2_T3_T4_T5_.private_seg_size, 0
	.set _ZN2ck19kernel_gemm_dl_v1r3INS_28GridwiseGemmDl_km_kn_mn_v1r3ILi256EDF16_fDF16_LNS_25InMemoryDataOperationEnumE0ENS_16TensorDescriptorINS_5TupleIJNS_5EmbedINS4_IJiiEEENS4_IJNS_17integral_constantIiLi1EEEiEEELb0EEENS_7UnMergeINS4_IJiNS7_IiLi2EEEEEELb0EEENS_11PassThroughIiEEEEENS4_IJNS_8SequenceIJLi0EEEENSI_IJLi2EEEENSI_IJLi1EEEEEEENS4_IJNSI_IJLi1ELi2EEEENSI_IJLi3ELi4EEEENSI_IJLi5EEEEEEENSI_IJLi3ELi5ELi4EEEElEENS3_INS4_IJNS5_IS6_NS4_IJiS8_EEELb0EEESE_SG_EEENS4_IJSJ_SL_SK_EEESQ_SR_lEENS3_INS4_IJSU_SG_SG_EEESW_NS4_IJSN_NSI_IJLi3EEEENSI_IJLi4EEEEEEESO_lEELi128ELi128ELi16ELi2ELi4ELi4ELi1ENSI_IJLi8ELi2EEEES13_NSI_IJLi2ELi1ELi4ELi2EEEENSI_IJLi8ELi1ELi32ELi1EEEENSI_IJLi0ELi3ELi1ELi2EEEES16_NSI_IJLi1ELi1ELi4ELi1EEEES16_NSI_IJLi1ELi1ELi4ELi2EEEES14_S15_S16_S16_S17_S16_S18_NSI_IJLi0ELi1ELi2ELi3ELi4ELi5EEEELi5ELi4EEEDF16_DF16_NS3_INS4_IJSA_SE_SG_SG_NSB_INS4_IJiNS7_IiLi128EEEEEELb0EEENSF_ISC_EEEEENS4_IJSJ_SK_SL_SZ_SP_S10_EEENS4_IJSN_SO_SP_NSI_IJLi6EEEENSI_IJLi7ELi8EEEENSI_IJLi9EEEEEEENSI_IJLi6ELi7ELi8ELi9EEEElEENS3_INS4_IJSU_SE_SG_SG_S1D_S1E_EEENS4_IJSJ_SL_SK_SZ_SP_S10_EEES1K_S1L_lEENS3_INS4_IJSU_SG_SG_NSB_INS4_IJiSC_NS7_IiLi64EEEEEELb0EEES1S_EEENS4_IJSJ_SL_SK_SZ_S10_EEENS4_IJSN_SZ_S10_NSI_IJLi5ELi6ELi7EEEENSI_IJLi8ELi9ELi10EEEEEEENSI_IJLi5ELi6ELi7ELi8ELi9ELi10EEEElEENS_31BlockToCTileMap_M00_N00_M01_N01ILi128ELi128ES12_Lb0EEELb1ELb1EEEvPKT0_S24_PT1_T2_T3_T4_T5_.uses_vcc, 0
	.set _ZN2ck19kernel_gemm_dl_v1r3INS_28GridwiseGemmDl_km_kn_mn_v1r3ILi256EDF16_fDF16_LNS_25InMemoryDataOperationEnumE0ENS_16TensorDescriptorINS_5TupleIJNS_5EmbedINS4_IJiiEEENS4_IJNS_17integral_constantIiLi1EEEiEEELb0EEENS_7UnMergeINS4_IJiNS7_IiLi2EEEEEELb0EEENS_11PassThroughIiEEEEENS4_IJNS_8SequenceIJLi0EEEENSI_IJLi2EEEENSI_IJLi1EEEEEEENS4_IJNSI_IJLi1ELi2EEEENSI_IJLi3ELi4EEEENSI_IJLi5EEEEEEENSI_IJLi3ELi5ELi4EEEElEENS3_INS4_IJNS5_IS6_NS4_IJiS8_EEELb0EEESE_SG_EEENS4_IJSJ_SL_SK_EEESQ_SR_lEENS3_INS4_IJSU_SG_SG_EEESW_NS4_IJSN_NSI_IJLi3EEEENSI_IJLi4EEEEEEESO_lEELi128ELi128ELi16ELi2ELi4ELi4ELi1ENSI_IJLi8ELi2EEEES13_NSI_IJLi2ELi1ELi4ELi2EEEENSI_IJLi8ELi1ELi32ELi1EEEENSI_IJLi0ELi3ELi1ELi2EEEES16_NSI_IJLi1ELi1ELi4ELi1EEEES16_NSI_IJLi1ELi1ELi4ELi2EEEES14_S15_S16_S16_S17_S16_S18_NSI_IJLi0ELi1ELi2ELi3ELi4ELi5EEEELi5ELi4EEEDF16_DF16_NS3_INS4_IJSA_SE_SG_SG_NSB_INS4_IJiNS7_IiLi128EEEEEELb0EEENSF_ISC_EEEEENS4_IJSJ_SK_SL_SZ_SP_S10_EEENS4_IJSN_SO_SP_NSI_IJLi6EEEENSI_IJLi7ELi8EEEENSI_IJLi9EEEEEEENSI_IJLi6ELi7ELi8ELi9EEEElEENS3_INS4_IJSU_SE_SG_SG_S1D_S1E_EEENS4_IJSJ_SL_SK_SZ_SP_S10_EEES1K_S1L_lEENS3_INS4_IJSU_SG_SG_NSB_INS4_IJiSC_NS7_IiLi64EEEEEELb0EEES1S_EEENS4_IJSJ_SL_SK_SZ_S10_EEENS4_IJSN_SZ_S10_NSI_IJLi5ELi6ELi7EEEENSI_IJLi8ELi9ELi10EEEEEEENSI_IJLi5ELi6ELi7ELi8ELi9ELi10EEEElEENS_31BlockToCTileMap_M00_N00_M01_N01ILi128ELi128ES12_Lb0EEELb1ELb1EEEvPKT0_S24_PT1_T2_T3_T4_T5_.uses_flat_scratch, 0
	.set _ZN2ck19kernel_gemm_dl_v1r3INS_28GridwiseGemmDl_km_kn_mn_v1r3ILi256EDF16_fDF16_LNS_25InMemoryDataOperationEnumE0ENS_16TensorDescriptorINS_5TupleIJNS_5EmbedINS4_IJiiEEENS4_IJNS_17integral_constantIiLi1EEEiEEELb0EEENS_7UnMergeINS4_IJiNS7_IiLi2EEEEEELb0EEENS_11PassThroughIiEEEEENS4_IJNS_8SequenceIJLi0EEEENSI_IJLi2EEEENSI_IJLi1EEEEEEENS4_IJNSI_IJLi1ELi2EEEENSI_IJLi3ELi4EEEENSI_IJLi5EEEEEEENSI_IJLi3ELi5ELi4EEEElEENS3_INS4_IJNS5_IS6_NS4_IJiS8_EEELb0EEESE_SG_EEENS4_IJSJ_SL_SK_EEESQ_SR_lEENS3_INS4_IJSU_SG_SG_EEESW_NS4_IJSN_NSI_IJLi3EEEENSI_IJLi4EEEEEEESO_lEELi128ELi128ELi16ELi2ELi4ELi4ELi1ENSI_IJLi8ELi2EEEES13_NSI_IJLi2ELi1ELi4ELi2EEEENSI_IJLi8ELi1ELi32ELi1EEEENSI_IJLi0ELi3ELi1ELi2EEEES16_NSI_IJLi1ELi1ELi4ELi1EEEES16_NSI_IJLi1ELi1ELi4ELi2EEEES14_S15_S16_S16_S17_S16_S18_NSI_IJLi0ELi1ELi2ELi3ELi4ELi5EEEELi5ELi4EEEDF16_DF16_NS3_INS4_IJSA_SE_SG_SG_NSB_INS4_IJiNS7_IiLi128EEEEEELb0EEENSF_ISC_EEEEENS4_IJSJ_SK_SL_SZ_SP_S10_EEENS4_IJSN_SO_SP_NSI_IJLi6EEEENSI_IJLi7ELi8EEEENSI_IJLi9EEEEEEENSI_IJLi6ELi7ELi8ELi9EEEElEENS3_INS4_IJSU_SE_SG_SG_S1D_S1E_EEENS4_IJSJ_SL_SK_SZ_SP_S10_EEES1K_S1L_lEENS3_INS4_IJSU_SG_SG_NSB_INS4_IJiSC_NS7_IiLi64EEEEEELb0EEES1S_EEENS4_IJSJ_SL_SK_SZ_S10_EEENS4_IJSN_SZ_S10_NSI_IJLi5ELi6ELi7EEEENSI_IJLi8ELi9ELi10EEEEEEENSI_IJLi5ELi6ELi7ELi8ELi9ELi10EEEElEENS_31BlockToCTileMap_M00_N00_M01_N01ILi128ELi128ES12_Lb0EEELb1ELb1EEEvPKT0_S24_PT1_T2_T3_T4_T5_.has_dyn_sized_stack, 0
	.set _ZN2ck19kernel_gemm_dl_v1r3INS_28GridwiseGemmDl_km_kn_mn_v1r3ILi256EDF16_fDF16_LNS_25InMemoryDataOperationEnumE0ENS_16TensorDescriptorINS_5TupleIJNS_5EmbedINS4_IJiiEEENS4_IJNS_17integral_constantIiLi1EEEiEEELb0EEENS_7UnMergeINS4_IJiNS7_IiLi2EEEEEELb0EEENS_11PassThroughIiEEEEENS4_IJNS_8SequenceIJLi0EEEENSI_IJLi2EEEENSI_IJLi1EEEEEEENS4_IJNSI_IJLi1ELi2EEEENSI_IJLi3ELi4EEEENSI_IJLi5EEEEEEENSI_IJLi3ELi5ELi4EEEElEENS3_INS4_IJNS5_IS6_NS4_IJiS8_EEELb0EEESE_SG_EEENS4_IJSJ_SL_SK_EEESQ_SR_lEENS3_INS4_IJSU_SG_SG_EEESW_NS4_IJSN_NSI_IJLi3EEEENSI_IJLi4EEEEEEESO_lEELi128ELi128ELi16ELi2ELi4ELi4ELi1ENSI_IJLi8ELi2EEEES13_NSI_IJLi2ELi1ELi4ELi2EEEENSI_IJLi8ELi1ELi32ELi1EEEENSI_IJLi0ELi3ELi1ELi2EEEES16_NSI_IJLi1ELi1ELi4ELi1EEEES16_NSI_IJLi1ELi1ELi4ELi2EEEES14_S15_S16_S16_S17_S16_S18_NSI_IJLi0ELi1ELi2ELi3ELi4ELi5EEEELi5ELi4EEEDF16_DF16_NS3_INS4_IJSA_SE_SG_SG_NSB_INS4_IJiNS7_IiLi128EEEEEELb0EEENSF_ISC_EEEEENS4_IJSJ_SK_SL_SZ_SP_S10_EEENS4_IJSN_SO_SP_NSI_IJLi6EEEENSI_IJLi7ELi8EEEENSI_IJLi9EEEEEEENSI_IJLi6ELi7ELi8ELi9EEEElEENS3_INS4_IJSU_SE_SG_SG_S1D_S1E_EEENS4_IJSJ_SL_SK_SZ_SP_S10_EEES1K_S1L_lEENS3_INS4_IJSU_SG_SG_NSB_INS4_IJiSC_NS7_IiLi64EEEEEELb0EEES1S_EEENS4_IJSJ_SL_SK_SZ_S10_EEENS4_IJSN_SZ_S10_NSI_IJLi5ELi6ELi7EEEENSI_IJLi8ELi9ELi10EEEEEEENSI_IJLi5ELi6ELi7ELi8ELi9ELi10EEEElEENS_31BlockToCTileMap_M00_N00_M01_N01ILi128ELi128ES12_Lb0EEELb1ELb1EEEvPKT0_S24_PT1_T2_T3_T4_T5_.has_recursion, 0
	.set _ZN2ck19kernel_gemm_dl_v1r3INS_28GridwiseGemmDl_km_kn_mn_v1r3ILi256EDF16_fDF16_LNS_25InMemoryDataOperationEnumE0ENS_16TensorDescriptorINS_5TupleIJNS_5EmbedINS4_IJiiEEENS4_IJNS_17integral_constantIiLi1EEEiEEELb0EEENS_7UnMergeINS4_IJiNS7_IiLi2EEEEEELb0EEENS_11PassThroughIiEEEEENS4_IJNS_8SequenceIJLi0EEEENSI_IJLi2EEEENSI_IJLi1EEEEEEENS4_IJNSI_IJLi1ELi2EEEENSI_IJLi3ELi4EEEENSI_IJLi5EEEEEEENSI_IJLi3ELi5ELi4EEEElEENS3_INS4_IJNS5_IS6_NS4_IJiS8_EEELb0EEESE_SG_EEENS4_IJSJ_SL_SK_EEESQ_SR_lEENS3_INS4_IJSU_SG_SG_EEESW_NS4_IJSN_NSI_IJLi3EEEENSI_IJLi4EEEEEEESO_lEELi128ELi128ELi16ELi2ELi4ELi4ELi1ENSI_IJLi8ELi2EEEES13_NSI_IJLi2ELi1ELi4ELi2EEEENSI_IJLi8ELi1ELi32ELi1EEEENSI_IJLi0ELi3ELi1ELi2EEEES16_NSI_IJLi1ELi1ELi4ELi1EEEES16_NSI_IJLi1ELi1ELi4ELi2EEEES14_S15_S16_S16_S17_S16_S18_NSI_IJLi0ELi1ELi2ELi3ELi4ELi5EEEELi5ELi4EEEDF16_DF16_NS3_INS4_IJSA_SE_SG_SG_NSB_INS4_IJiNS7_IiLi128EEEEEELb0EEENSF_ISC_EEEEENS4_IJSJ_SK_SL_SZ_SP_S10_EEENS4_IJSN_SO_SP_NSI_IJLi6EEEENSI_IJLi7ELi8EEEENSI_IJLi9EEEEEEENSI_IJLi6ELi7ELi8ELi9EEEElEENS3_INS4_IJSU_SE_SG_SG_S1D_S1E_EEENS4_IJSJ_SL_SK_SZ_SP_S10_EEES1K_S1L_lEENS3_INS4_IJSU_SG_SG_NSB_INS4_IJiSC_NS7_IiLi64EEEEEELb0EEES1S_EEENS4_IJSJ_SL_SK_SZ_S10_EEENS4_IJSN_SZ_S10_NSI_IJLi5ELi6ELi7EEEENSI_IJLi8ELi9ELi10EEEEEEENSI_IJLi5ELi6ELi7ELi8ELi9ELi10EEEElEENS_31BlockToCTileMap_M00_N00_M01_N01ILi128ELi128ES12_Lb0EEELb1ELb1EEEvPKT0_S24_PT1_T2_T3_T4_T5_.has_indirect_call, 0
	.section	.AMDGPU.csdata,"",@progbits
; Kernel info:
; codeLenInByte = 39104
; TotalNumSgprs: 41
; NumVgprs: 203
; ScratchSize: 0
; MemoryBound: 0
; FloatMode: 240
; IeeeMode: 1
; LDSByteSize: 32768 bytes/workgroup (compile time only)
; SGPRBlocks: 0
; VGPRBlocks: 25
; NumSGPRsForWavesPerEU: 41
; NumVGPRsForWavesPerEU: 203
; Occupancy: 7
; WaveLimiterHint : 0
; COMPUTE_PGM_RSRC2:SCRATCH_EN: 0
; COMPUTE_PGM_RSRC2:USER_SGPR: 2
; COMPUTE_PGM_RSRC2:TRAP_HANDLER: 0
; COMPUTE_PGM_RSRC2:TGID_X_EN: 1
; COMPUTE_PGM_RSRC2:TGID_Y_EN: 0
; COMPUTE_PGM_RSRC2:TGID_Z_EN: 0
; COMPUTE_PGM_RSRC2:TIDIG_COMP_CNT: 0
	.section	.text._ZN2ck19kernel_gemm_dl_v1r3INS_28GridwiseGemmDl_km_kn_mn_v1r3ILi256EDF16_fDF16_LNS_25InMemoryDataOperationEnumE0ENS_16TensorDescriptorINS_5TupleIJNS_5EmbedINS4_IJiiEEENS4_IJNS_17integral_constantIiLi1EEEiEEELb0EEENS_7UnMergeINS4_IJiNS7_IiLi2EEEEEELb0EEENS_11PassThroughIiEEEEENS4_IJNS_8SequenceIJLi0EEEENSI_IJLi2EEEENSI_IJLi1EEEEEEENS4_IJNSI_IJLi1ELi2EEEENSI_IJLi3ELi4EEEENSI_IJLi5EEEEEEENSI_IJLi3ELi5ELi4EEEElEENS3_INS4_IJNS5_IS6_NS4_IJiS8_EEELb0EEESE_SG_EEENS4_IJSJ_SL_SK_EEESQ_SR_lEENS3_INS4_IJSU_SG_SG_EEESW_NS4_IJSN_NSI_IJLi3EEEENSI_IJLi4EEEEEEESO_lEELi128ELi128ELi16ELi2ELi4ELi4ELi1ENSI_IJLi8ELi2EEEES13_NSI_IJLi2ELi1ELi4ELi2EEEENSI_IJLi8ELi1ELi32ELi1EEEENSI_IJLi0ELi3ELi1ELi2EEEES16_NSI_IJLi1ELi1ELi4ELi1EEEES16_NSI_IJLi1ELi1ELi4ELi2EEEES14_S15_S16_S16_S17_S16_S18_NSI_IJLi0ELi1ELi2ELi3ELi4ELi5EEEELi5ELi4EEEDF16_DF16_NS3_INS4_IJSA_SE_SG_SG_NSB_INS4_IJiNS7_IiLi128EEEEEELb0EEENSF_ISC_EEEEENS4_IJSJ_SK_SL_SZ_SP_S10_EEENS4_IJSN_SO_SP_NSI_IJLi6EEEENSI_IJLi7ELi8EEEENSI_IJLi9EEEEEEENSI_IJLi6ELi7ELi8ELi9EEEElEENS3_INS4_IJSU_SE_SG_SG_S1D_S1E_EEENS4_IJSJ_SL_SK_SZ_SP_S10_EEES1K_S1L_lEENS3_INS4_IJSU_SG_SG_NSB_INS4_IJiSC_NS7_IiLi64EEEEEELb0EEES1S_EEENS4_IJSJ_SL_SK_SZ_S10_EEENS4_IJSN_SZ_S10_NSI_IJLi5ELi6ELi7EEEENSI_IJLi8ELi9ELi10EEEEEEENSI_IJLi5ELi6ELi7ELi8ELi9ELi10EEEElEENS_31BlockToCTileMap_M00_N00_M01_N01ILi128ELi128ES12_Lb0EEELb1ELb0EEEvPKT0_S24_PT1_T2_T3_T4_T5_,"axG",@progbits,_ZN2ck19kernel_gemm_dl_v1r3INS_28GridwiseGemmDl_km_kn_mn_v1r3ILi256EDF16_fDF16_LNS_25InMemoryDataOperationEnumE0ENS_16TensorDescriptorINS_5TupleIJNS_5EmbedINS4_IJiiEEENS4_IJNS_17integral_constantIiLi1EEEiEEELb0EEENS_7UnMergeINS4_IJiNS7_IiLi2EEEEEELb0EEENS_11PassThroughIiEEEEENS4_IJNS_8SequenceIJLi0EEEENSI_IJLi2EEEENSI_IJLi1EEEEEEENS4_IJNSI_IJLi1ELi2EEEENSI_IJLi3ELi4EEEENSI_IJLi5EEEEEEENSI_IJLi3ELi5ELi4EEEElEENS3_INS4_IJNS5_IS6_NS4_IJiS8_EEELb0EEESE_SG_EEENS4_IJSJ_SL_SK_EEESQ_SR_lEENS3_INS4_IJSU_SG_SG_EEESW_NS4_IJSN_NSI_IJLi3EEEENSI_IJLi4EEEEEEESO_lEELi128ELi128ELi16ELi2ELi4ELi4ELi1ENSI_IJLi8ELi2EEEES13_NSI_IJLi2ELi1ELi4ELi2EEEENSI_IJLi8ELi1ELi32ELi1EEEENSI_IJLi0ELi3ELi1ELi2EEEES16_NSI_IJLi1ELi1ELi4ELi1EEEES16_NSI_IJLi1ELi1ELi4ELi2EEEES14_S15_S16_S16_S17_S16_S18_NSI_IJLi0ELi1ELi2ELi3ELi4ELi5EEEELi5ELi4EEEDF16_DF16_NS3_INS4_IJSA_SE_SG_SG_NSB_INS4_IJiNS7_IiLi128EEEEEELb0EEENSF_ISC_EEEEENS4_IJSJ_SK_SL_SZ_SP_S10_EEENS4_IJSN_SO_SP_NSI_IJLi6EEEENSI_IJLi7ELi8EEEENSI_IJLi9EEEEEEENSI_IJLi6ELi7ELi8ELi9EEEElEENS3_INS4_IJSU_SE_SG_SG_S1D_S1E_EEENS4_IJSJ_SL_SK_SZ_SP_S10_EEES1K_S1L_lEENS3_INS4_IJSU_SG_SG_NSB_INS4_IJiSC_NS7_IiLi64EEEEEELb0EEES1S_EEENS4_IJSJ_SL_SK_SZ_S10_EEENS4_IJSN_SZ_S10_NSI_IJLi5ELi6ELi7EEEENSI_IJLi8ELi9ELi10EEEEEEENSI_IJLi5ELi6ELi7ELi8ELi9ELi10EEEElEENS_31BlockToCTileMap_M00_N00_M01_N01ILi128ELi128ES12_Lb0EEELb1ELb0EEEvPKT0_S24_PT1_T2_T3_T4_T5_,comdat
	.protected	_ZN2ck19kernel_gemm_dl_v1r3INS_28GridwiseGemmDl_km_kn_mn_v1r3ILi256EDF16_fDF16_LNS_25InMemoryDataOperationEnumE0ENS_16TensorDescriptorINS_5TupleIJNS_5EmbedINS4_IJiiEEENS4_IJNS_17integral_constantIiLi1EEEiEEELb0EEENS_7UnMergeINS4_IJiNS7_IiLi2EEEEEELb0EEENS_11PassThroughIiEEEEENS4_IJNS_8SequenceIJLi0EEEENSI_IJLi2EEEENSI_IJLi1EEEEEEENS4_IJNSI_IJLi1ELi2EEEENSI_IJLi3ELi4EEEENSI_IJLi5EEEEEEENSI_IJLi3ELi5ELi4EEEElEENS3_INS4_IJNS5_IS6_NS4_IJiS8_EEELb0EEESE_SG_EEENS4_IJSJ_SL_SK_EEESQ_SR_lEENS3_INS4_IJSU_SG_SG_EEESW_NS4_IJSN_NSI_IJLi3EEEENSI_IJLi4EEEEEEESO_lEELi128ELi128ELi16ELi2ELi4ELi4ELi1ENSI_IJLi8ELi2EEEES13_NSI_IJLi2ELi1ELi4ELi2EEEENSI_IJLi8ELi1ELi32ELi1EEEENSI_IJLi0ELi3ELi1ELi2EEEES16_NSI_IJLi1ELi1ELi4ELi1EEEES16_NSI_IJLi1ELi1ELi4ELi2EEEES14_S15_S16_S16_S17_S16_S18_NSI_IJLi0ELi1ELi2ELi3ELi4ELi5EEEELi5ELi4EEEDF16_DF16_NS3_INS4_IJSA_SE_SG_SG_NSB_INS4_IJiNS7_IiLi128EEEEEELb0EEENSF_ISC_EEEEENS4_IJSJ_SK_SL_SZ_SP_S10_EEENS4_IJSN_SO_SP_NSI_IJLi6EEEENSI_IJLi7ELi8EEEENSI_IJLi9EEEEEEENSI_IJLi6ELi7ELi8ELi9EEEElEENS3_INS4_IJSU_SE_SG_SG_S1D_S1E_EEENS4_IJSJ_SL_SK_SZ_SP_S10_EEES1K_S1L_lEENS3_INS4_IJSU_SG_SG_NSB_INS4_IJiSC_NS7_IiLi64EEEEEELb0EEES1S_EEENS4_IJSJ_SL_SK_SZ_S10_EEENS4_IJSN_SZ_S10_NSI_IJLi5ELi6ELi7EEEENSI_IJLi8ELi9ELi10EEEEEEENSI_IJLi5ELi6ELi7ELi8ELi9ELi10EEEElEENS_31BlockToCTileMap_M00_N00_M01_N01ILi128ELi128ES12_Lb0EEELb1ELb0EEEvPKT0_S24_PT1_T2_T3_T4_T5_ ; -- Begin function _ZN2ck19kernel_gemm_dl_v1r3INS_28GridwiseGemmDl_km_kn_mn_v1r3ILi256EDF16_fDF16_LNS_25InMemoryDataOperationEnumE0ENS_16TensorDescriptorINS_5TupleIJNS_5EmbedINS4_IJiiEEENS4_IJNS_17integral_constantIiLi1EEEiEEELb0EEENS_7UnMergeINS4_IJiNS7_IiLi2EEEEEELb0EEENS_11PassThroughIiEEEEENS4_IJNS_8SequenceIJLi0EEEENSI_IJLi2EEEENSI_IJLi1EEEEEEENS4_IJNSI_IJLi1ELi2EEEENSI_IJLi3ELi4EEEENSI_IJLi5EEEEEEENSI_IJLi3ELi5ELi4EEEElEENS3_INS4_IJNS5_IS6_NS4_IJiS8_EEELb0EEESE_SG_EEENS4_IJSJ_SL_SK_EEESQ_SR_lEENS3_INS4_IJSU_SG_SG_EEESW_NS4_IJSN_NSI_IJLi3EEEENSI_IJLi4EEEEEEESO_lEELi128ELi128ELi16ELi2ELi4ELi4ELi1ENSI_IJLi8ELi2EEEES13_NSI_IJLi2ELi1ELi4ELi2EEEENSI_IJLi8ELi1ELi32ELi1EEEENSI_IJLi0ELi3ELi1ELi2EEEES16_NSI_IJLi1ELi1ELi4ELi1EEEES16_NSI_IJLi1ELi1ELi4ELi2EEEES14_S15_S16_S16_S17_S16_S18_NSI_IJLi0ELi1ELi2ELi3ELi4ELi5EEEELi5ELi4EEEDF16_DF16_NS3_INS4_IJSA_SE_SG_SG_NSB_INS4_IJiNS7_IiLi128EEEEEELb0EEENSF_ISC_EEEEENS4_IJSJ_SK_SL_SZ_SP_S10_EEENS4_IJSN_SO_SP_NSI_IJLi6EEEENSI_IJLi7ELi8EEEENSI_IJLi9EEEEEEENSI_IJLi6ELi7ELi8ELi9EEEElEENS3_INS4_IJSU_SE_SG_SG_S1D_S1E_EEENS4_IJSJ_SL_SK_SZ_SP_S10_EEES1K_S1L_lEENS3_INS4_IJSU_SG_SG_NSB_INS4_IJiSC_NS7_IiLi64EEEEEELb0EEES1S_EEENS4_IJSJ_SL_SK_SZ_S10_EEENS4_IJSN_SZ_S10_NSI_IJLi5ELi6ELi7EEEENSI_IJLi8ELi9ELi10EEEEEEENSI_IJLi5ELi6ELi7ELi8ELi9ELi10EEEElEENS_31BlockToCTileMap_M00_N00_M01_N01ILi128ELi128ES12_Lb0EEELb1ELb0EEEvPKT0_S24_PT1_T2_T3_T4_T5_
	.globl	_ZN2ck19kernel_gemm_dl_v1r3INS_28GridwiseGemmDl_km_kn_mn_v1r3ILi256EDF16_fDF16_LNS_25InMemoryDataOperationEnumE0ENS_16TensorDescriptorINS_5TupleIJNS_5EmbedINS4_IJiiEEENS4_IJNS_17integral_constantIiLi1EEEiEEELb0EEENS_7UnMergeINS4_IJiNS7_IiLi2EEEEEELb0EEENS_11PassThroughIiEEEEENS4_IJNS_8SequenceIJLi0EEEENSI_IJLi2EEEENSI_IJLi1EEEEEEENS4_IJNSI_IJLi1ELi2EEEENSI_IJLi3ELi4EEEENSI_IJLi5EEEEEEENSI_IJLi3ELi5ELi4EEEElEENS3_INS4_IJNS5_IS6_NS4_IJiS8_EEELb0EEESE_SG_EEENS4_IJSJ_SL_SK_EEESQ_SR_lEENS3_INS4_IJSU_SG_SG_EEESW_NS4_IJSN_NSI_IJLi3EEEENSI_IJLi4EEEEEEESO_lEELi128ELi128ELi16ELi2ELi4ELi4ELi1ENSI_IJLi8ELi2EEEES13_NSI_IJLi2ELi1ELi4ELi2EEEENSI_IJLi8ELi1ELi32ELi1EEEENSI_IJLi0ELi3ELi1ELi2EEEES16_NSI_IJLi1ELi1ELi4ELi1EEEES16_NSI_IJLi1ELi1ELi4ELi2EEEES14_S15_S16_S16_S17_S16_S18_NSI_IJLi0ELi1ELi2ELi3ELi4ELi5EEEELi5ELi4EEEDF16_DF16_NS3_INS4_IJSA_SE_SG_SG_NSB_INS4_IJiNS7_IiLi128EEEEEELb0EEENSF_ISC_EEEEENS4_IJSJ_SK_SL_SZ_SP_S10_EEENS4_IJSN_SO_SP_NSI_IJLi6EEEENSI_IJLi7ELi8EEEENSI_IJLi9EEEEEEENSI_IJLi6ELi7ELi8ELi9EEEElEENS3_INS4_IJSU_SE_SG_SG_S1D_S1E_EEENS4_IJSJ_SL_SK_SZ_SP_S10_EEES1K_S1L_lEENS3_INS4_IJSU_SG_SG_NSB_INS4_IJiSC_NS7_IiLi64EEEEEELb0EEES1S_EEENS4_IJSJ_SL_SK_SZ_S10_EEENS4_IJSN_SZ_S10_NSI_IJLi5ELi6ELi7EEEENSI_IJLi8ELi9ELi10EEEEEEENSI_IJLi5ELi6ELi7ELi8ELi9ELi10EEEElEENS_31BlockToCTileMap_M00_N00_M01_N01ILi128ELi128ES12_Lb0EEELb1ELb0EEEvPKT0_S24_PT1_T2_T3_T4_T5_
	.p2align	8
	.type	_ZN2ck19kernel_gemm_dl_v1r3INS_28GridwiseGemmDl_km_kn_mn_v1r3ILi256EDF16_fDF16_LNS_25InMemoryDataOperationEnumE0ENS_16TensorDescriptorINS_5TupleIJNS_5EmbedINS4_IJiiEEENS4_IJNS_17integral_constantIiLi1EEEiEEELb0EEENS_7UnMergeINS4_IJiNS7_IiLi2EEEEEELb0EEENS_11PassThroughIiEEEEENS4_IJNS_8SequenceIJLi0EEEENSI_IJLi2EEEENSI_IJLi1EEEEEEENS4_IJNSI_IJLi1ELi2EEEENSI_IJLi3ELi4EEEENSI_IJLi5EEEEEEENSI_IJLi3ELi5ELi4EEEElEENS3_INS4_IJNS5_IS6_NS4_IJiS8_EEELb0EEESE_SG_EEENS4_IJSJ_SL_SK_EEESQ_SR_lEENS3_INS4_IJSU_SG_SG_EEESW_NS4_IJSN_NSI_IJLi3EEEENSI_IJLi4EEEEEEESO_lEELi128ELi128ELi16ELi2ELi4ELi4ELi1ENSI_IJLi8ELi2EEEES13_NSI_IJLi2ELi1ELi4ELi2EEEENSI_IJLi8ELi1ELi32ELi1EEEENSI_IJLi0ELi3ELi1ELi2EEEES16_NSI_IJLi1ELi1ELi4ELi1EEEES16_NSI_IJLi1ELi1ELi4ELi2EEEES14_S15_S16_S16_S17_S16_S18_NSI_IJLi0ELi1ELi2ELi3ELi4ELi5EEEELi5ELi4EEEDF16_DF16_NS3_INS4_IJSA_SE_SG_SG_NSB_INS4_IJiNS7_IiLi128EEEEEELb0EEENSF_ISC_EEEEENS4_IJSJ_SK_SL_SZ_SP_S10_EEENS4_IJSN_SO_SP_NSI_IJLi6EEEENSI_IJLi7ELi8EEEENSI_IJLi9EEEEEEENSI_IJLi6ELi7ELi8ELi9EEEElEENS3_INS4_IJSU_SE_SG_SG_S1D_S1E_EEENS4_IJSJ_SL_SK_SZ_SP_S10_EEES1K_S1L_lEENS3_INS4_IJSU_SG_SG_NSB_INS4_IJiSC_NS7_IiLi64EEEEEELb0EEES1S_EEENS4_IJSJ_SL_SK_SZ_S10_EEENS4_IJSN_SZ_S10_NSI_IJLi5ELi6ELi7EEEENSI_IJLi8ELi9ELi10EEEEEEENSI_IJLi5ELi6ELi7ELi8ELi9ELi10EEEElEENS_31BlockToCTileMap_M00_N00_M01_N01ILi128ELi128ES12_Lb0EEELb1ELb0EEEvPKT0_S24_PT1_T2_T3_T4_T5_,@function
_ZN2ck19kernel_gemm_dl_v1r3INS_28GridwiseGemmDl_km_kn_mn_v1r3ILi256EDF16_fDF16_LNS_25InMemoryDataOperationEnumE0ENS_16TensorDescriptorINS_5TupleIJNS_5EmbedINS4_IJiiEEENS4_IJNS_17integral_constantIiLi1EEEiEEELb0EEENS_7UnMergeINS4_IJiNS7_IiLi2EEEEEELb0EEENS_11PassThroughIiEEEEENS4_IJNS_8SequenceIJLi0EEEENSI_IJLi2EEEENSI_IJLi1EEEEEEENS4_IJNSI_IJLi1ELi2EEEENSI_IJLi3ELi4EEEENSI_IJLi5EEEEEEENSI_IJLi3ELi5ELi4EEEElEENS3_INS4_IJNS5_IS6_NS4_IJiS8_EEELb0EEESE_SG_EEENS4_IJSJ_SL_SK_EEESQ_SR_lEENS3_INS4_IJSU_SG_SG_EEESW_NS4_IJSN_NSI_IJLi3EEEENSI_IJLi4EEEEEEESO_lEELi128ELi128ELi16ELi2ELi4ELi4ELi1ENSI_IJLi8ELi2EEEES13_NSI_IJLi2ELi1ELi4ELi2EEEENSI_IJLi8ELi1ELi32ELi1EEEENSI_IJLi0ELi3ELi1ELi2EEEES16_NSI_IJLi1ELi1ELi4ELi1EEEES16_NSI_IJLi1ELi1ELi4ELi2EEEES14_S15_S16_S16_S17_S16_S18_NSI_IJLi0ELi1ELi2ELi3ELi4ELi5EEEELi5ELi4EEEDF16_DF16_NS3_INS4_IJSA_SE_SG_SG_NSB_INS4_IJiNS7_IiLi128EEEEEELb0EEENSF_ISC_EEEEENS4_IJSJ_SK_SL_SZ_SP_S10_EEENS4_IJSN_SO_SP_NSI_IJLi6EEEENSI_IJLi7ELi8EEEENSI_IJLi9EEEEEEENSI_IJLi6ELi7ELi8ELi9EEEElEENS3_INS4_IJSU_SE_SG_SG_S1D_S1E_EEENS4_IJSJ_SL_SK_SZ_SP_S10_EEES1K_S1L_lEENS3_INS4_IJSU_SG_SG_NSB_INS4_IJiSC_NS7_IiLi64EEEEEELb0EEES1S_EEENS4_IJSJ_SL_SK_SZ_S10_EEENS4_IJSN_SZ_S10_NSI_IJLi5ELi6ELi7EEEENSI_IJLi8ELi9ELi10EEEEEEENSI_IJLi5ELi6ELi7ELi8ELi9ELi10EEEElEENS_31BlockToCTileMap_M00_N00_M01_N01ILi128ELi128ES12_Lb0EEELb1ELb0EEEvPKT0_S24_PT1_T2_T3_T4_T5_: ; @_ZN2ck19kernel_gemm_dl_v1r3INS_28GridwiseGemmDl_km_kn_mn_v1r3ILi256EDF16_fDF16_LNS_25InMemoryDataOperationEnumE0ENS_16TensorDescriptorINS_5TupleIJNS_5EmbedINS4_IJiiEEENS4_IJNS_17integral_constantIiLi1EEEiEEELb0EEENS_7UnMergeINS4_IJiNS7_IiLi2EEEEEELb0EEENS_11PassThroughIiEEEEENS4_IJNS_8SequenceIJLi0EEEENSI_IJLi2EEEENSI_IJLi1EEEEEEENS4_IJNSI_IJLi1ELi2EEEENSI_IJLi3ELi4EEEENSI_IJLi5EEEEEEENSI_IJLi3ELi5ELi4EEEElEENS3_INS4_IJNS5_IS6_NS4_IJiS8_EEELb0EEESE_SG_EEENS4_IJSJ_SL_SK_EEESQ_SR_lEENS3_INS4_IJSU_SG_SG_EEESW_NS4_IJSN_NSI_IJLi3EEEENSI_IJLi4EEEEEEESO_lEELi128ELi128ELi16ELi2ELi4ELi4ELi1ENSI_IJLi8ELi2EEEES13_NSI_IJLi2ELi1ELi4ELi2EEEENSI_IJLi8ELi1ELi32ELi1EEEENSI_IJLi0ELi3ELi1ELi2EEEES16_NSI_IJLi1ELi1ELi4ELi1EEEES16_NSI_IJLi1ELi1ELi4ELi2EEEES14_S15_S16_S16_S17_S16_S18_NSI_IJLi0ELi1ELi2ELi3ELi4ELi5EEEELi5ELi4EEEDF16_DF16_NS3_INS4_IJSA_SE_SG_SG_NSB_INS4_IJiNS7_IiLi128EEEEEELb0EEENSF_ISC_EEEEENS4_IJSJ_SK_SL_SZ_SP_S10_EEENS4_IJSN_SO_SP_NSI_IJLi6EEEENSI_IJLi7ELi8EEEENSI_IJLi9EEEEEEENSI_IJLi6ELi7ELi8ELi9EEEElEENS3_INS4_IJSU_SE_SG_SG_S1D_S1E_EEENS4_IJSJ_SL_SK_SZ_SP_S10_EEES1K_S1L_lEENS3_INS4_IJSU_SG_SG_NSB_INS4_IJiSC_NS7_IiLi64EEEEEELb0EEES1S_EEENS4_IJSJ_SL_SK_SZ_S10_EEENS4_IJSN_SZ_S10_NSI_IJLi5ELi6ELi7EEEENSI_IJLi8ELi9ELi10EEEEEEENSI_IJLi5ELi6ELi7ELi8ELi9ELi10EEEElEENS_31BlockToCTileMap_M00_N00_M01_N01ILi128ELi128ES12_Lb0EEELb1ELb0EEEvPKT0_S24_PT1_T2_T3_T4_T5_
; %bb.0:
	s_clause 0x7
	s_load_b128 s[16:19], s[0:1], 0x11c
	s_load_b128 s[8:11], s[0:1], 0x130
	s_load_b128 s[12:15], s[0:1], 0x0
	s_load_b64 s[4:5], s[0:1], 0x10
	s_load_b32 s2, s[0:1], 0x50
	s_load_b32 s25, s[0:1], 0x60
	;; [unrolled: 1-line block ×3, first 2 shown]
	s_load_b128 s[20:23], s[0:1], 0x108
	v_lshrrev_b32_e32 v1, 4, v0
	v_dual_mov_b32 v23, 0 :: v_dual_lshlrev_b32 v8, 2, v0
	v_mov_b32_e32 v28, 0
	s_delay_alu instid0(VALU_DEP_3) | instskip(NEXT) | instid1(VALU_DEP_3)
	v_dual_mov_b32 v30, 0 :: v_dual_and_b32 v3, 14, v1
	v_and_b32_e32 v9, 0x7c, v8
	v_mov_b32_e32 v29, 0
	s_mov_b32 s3, 0x31004000
	v_mov_b32_e32 v70, 0
	v_lshlrev_b32_e32 v2, 1, v3
	v_dual_mov_b32 v26, 0 :: v_dual_mov_b32 v37, 0
	v_dual_mov_b32 v32, 0 :: v_dual_mov_b32 v55, 0
	v_dual_mov_b32 v34, 0 :: v_dual_mov_b32 v57, 0
	s_wait_kmcnt 0x0
	s_mul_hi_u32 s6, s19, ttmp9
	v_mul_lo_u32 v4, s25, v2
	s_add_co_i32 s27, ttmp9, s6
	s_clause 0x5
	s_load_b32 s24, s[0:1], 0x24
	s_load_b32 s26, s[0:1], 0x38
	;; [unrolled: 1-line block ×4, first 2 shown]
	s_load_b64 s[6:7], s[0:1], 0xd0
	s_load_b32 s0, s[0:1], 0xec
	s_wait_kmcnt 0x0
	s_lshr_b32 s7, s27, s11
	s_mov_b32 s11, s3
	s_mul_hi_u32 s1, s7, s18
	s_lshl_b32 s2, s2, 1
	s_add_co_i32 s1, s7, s1
	v_dual_mov_b32 v36, 0 :: v_dual_mov_b32 v63, 0
	s_lshr_b32 s10, s1, s10
	v_dual_mov_b32 v38, 0 :: v_dual_mov_b32 v47, 0
	s_mul_hi_u32 s1, s10, s17
	v_dual_mov_b32 v42, 0 :: v_dual_mov_b32 v71, 0
	s_add_co_i32 s1, s10, s1
	v_dual_mov_b32 v56, 0 :: v_dual_mov_b32 v73, 0
	s_lshr_b32 s9, s1, s9
	s_and_b32 s1, s13, 0xffff
	s_mul_hi_u32 s13, s9, s16
	s_mul_i32 s16, s7, s23
	s_add_co_i32 s13, s9, s13
	s_sub_co_i32 s16, ttmp9, s16
	s_lshr_b32 s8, s13, s8
	s_mul_i32 s13, s10, s22
	s_mul_i32 s8, s8, s20
	s_sub_co_i32 s27, s7, s13
	s_sub_co_i32 s7, s9, s8
	s_mul_i32 s9, s9, s21
	s_mul_i32 s7, s7, s0
	s_sub_co_i32 s0, s10, s9
	s_add_co_i32 s27, s27, s7
	s_mul_i32 s0, s0, s28
	s_lshl_b32 s13, s27, 7
	s_add_co_i32 s20, s16, s0
	v_or_b32_e32 v1, s13, v9
	s_lshl_b32 s7, s20, 7
	s_and_b32 s9, s15, 0xffff
	v_add3_u32 v4, v4, v9, s7
	s_lshl_b32 s15, s25, 1
	v_mad_co_u64_u32 v[1:2], null, s24, v2, v[1:2]
	s_delay_alu instid0(VALU_DEP_2) | instskip(SKIP_3) | instid1(VALU_DEP_3)
	v_dual_mov_b32 v31, 0 :: v_dual_add_nc_u32 v2, s25, v4
	v_dual_mov_b32 v24, 0 :: v_dual_lshlrev_b32 v5, 1, v4
	s_lshl_b32 s16, s24, 1
	s_lshl_b32 s10, s29, 1
	v_dual_mov_b32 v25, 0 :: v_dual_add_nc_u32 v10, s24, v1
	v_dual_mov_b32 v27, 0 :: v_dual_lshlrev_b32 v6, 1, v2
	v_add_lshl_u32 v2, v2, s15, 1
	s_mov_b32 s8, s14
	v_add_lshl_u32 v11, s15, v4, 1
	v_dual_mov_b32 v33, 0 :: v_dual_lshlrev_b32 v12, 1, v1
	v_dual_mov_b32 v35, 0 :: v_dual_lshlrev_b32 v14, 1, v10
	s_clause 0x3
	buffer_load_b64 v[4:5], v5, s[8:11], null offen
	buffer_load_b64 v[6:7], v6, s[8:11], null offen
	;; [unrolled: 1-line block ×4, first 2 shown]
	v_add_lshl_u32 v2, v10, s16, 1
	s_mov_b32 s0, s12
	v_add_lshl_u32 v1, s16, v1, 1
	s_clause 0x3
	buffer_load_b64 v[12:13], v12, s[0:3], null offen
	buffer_load_b64 v[14:15], v14, s[0:3], null offen
	;; [unrolled: 1-line block ×4, first 2 shown]
	v_lshrrev_b32_e32 v1, 5, v0
	v_lshlrev_b32_e32 v2, 1, v0
	v_dual_mov_b32 v44, 0 :: v_dual_lshlrev_b32 v9, 2, v9
	v_and_b32_e32 v0, 31, v0
	s_delay_alu instid0(VALU_DEP_4) | instskip(NEXT) | instid1(VALU_DEP_4)
	v_lshlrev_b32_e32 v10, 6, v1
	v_and_b32_e32 v11, 0x1f8, v2
	v_lshlrev_b32_e32 v16, 3, v1
	s_mul_i32 s0, s25, 0x84
	s_lshl_b32 s38, s20, 8
	v_dual_mov_b32 v48, 0 :: v_dual_mov_b32 v75, 0
	v_sub_nc_u32_e32 v10, v11, v10
	v_and_or_b32 v17, v2, 4, v16
	v_mul_lo_u32 v2, s25, v1
	v_mul_lo_u32 v1, s24, v1
	v_dual_mov_b32 v52, 0 :: v_dual_mov_b32 v65, 0
	v_and_or_b32 v16, v8, 4, v10
	v_dual_mov_b32 v54, 0 :: v_dual_mov_b32 v69, 0
	v_dual_mov_b32 v72, 0 :: v_dual_mov_b32 v79, 0
	;; [unrolled: 1-line block ×16, first 2 shown]
	v_dual_mov_b32 v68, 0 :: v_dual_lshlrev_b32 v19, 2, v16
	v_mov_b32_e32 v50, 0
	v_lshl_or_b32 v20, v3, 9, v9
	v_lshlrev_b32_e32 v18, 2, v17
	v_add_lshl_u32 v21, v2, v0, 3
	v_add_lshl_u32 v22, v1, v0, 3
	s_sub_co_i32 s16, s26, 32
	s_lshl_b32 s17, s25, 7
	s_mul_i32 s21, s25, 0x86
	s_mul_i32 s22, s25, 0x82
	;; [unrolled: 1-line block ×5, first 2 shown]
	s_lshl_b32 s29, s25, 6
	s_mul_i32 s30, s24, 0x84
	s_lshl_b32 s18, s24, 7
	s_mul_i32 s31, s24, 0x86
	s_mul_i32 s33, s24, 0x82
	;; [unrolled: 1-line block ×5, first 2 shown]
	s_lshl_b32 s37, s24, 6
	s_add_co_i32 s14, s38, s0
	s_lshl_b32 s0, s27, 8
	s_mov_b32 s15, 0
	s_add_co_i32 s20, s38, s21
	s_add_co_i32 s21, s38, s22
	s_wait_alu 0xfffe
	s_add_co_i32 s22, s38, s17
	s_add_co_i32 s23, s38, s23
	;; [unrolled: 1-line block ×13, first 2 shown]
	s_mov_b32 s0, s12
	s_wait_loadcnt 0x6
	v_perm_b32 v3, v7, v5, 0x7060302
	v_perm_b32 v1, v6, v4, 0x7060302
	;; [unrolled: 1-line block ×4, first 2 shown]
	s_wait_loadcnt 0x4
	v_perm_b32 v7, v88, v90, 0x7060302
	s_wait_loadcnt 0x2
	v_perm_b32 v11, v15, v13, 0x7060302
	v_perm_b32 v9, v14, v12, 0x7060302
	;; [unrolled: 1-line block ×4, first 2 shown]
	s_wait_loadcnt 0x0
	v_perm_b32 v15, v92, v94, 0x7060302
	v_perm_b32 v13, v91, v93, 0x7060302
	;; [unrolled: 1-line block ×7, first 2 shown]
	ds_store_b128 v20, v[8:11]
	ds_store_b128 v20, v[12:15] offset:512
	ds_store_b128 v20, v[0:3] offset:16384
	;; [unrolled: 1-line block ×3, first 2 shown]
.LBB2_1:                                ; =>This Inner Loop Header: Depth=1
	v_add_nc_u32_e32 v0, s35, v22
	v_add_nc_u32_e32 v1, s34, v22
	v_add_nc_u32_e32 v2, s33, v22
	v_add_nc_u32_e32 v3, s31, v22
	v_add_nc_u32_e32 v4, s26, v21
	s_wait_alu 0xfffe
	v_add_nc_u32_e32 v6, s25, v21
	v_add_nc_u32_e32 v87, s24, v21
	;; [unrolled: 1-line block ×3, first 2 shown]
	s_clause 0x3
	buffer_load_b64 v[12:13], v0, s[0:3], null offen
	buffer_load_b64 v[14:15], v1, s[0:3], null offen
	;; [unrolled: 1-line block ×4, first 2 shown]
	s_clause 0x3
	buffer_load_b64 v[4:5], v4, s[8:11], null offen
	buffer_load_b64 v[6:7], v6, s[8:11], null offen
	;; [unrolled: 1-line block ×4, first 2 shown]
	s_wait_dscnt 0x0
	s_barrier_signal -1
	s_barrier_wait -1
	ds_load_b128 v[97:100], v19 offset:16384
	ds_load_b128 v[101:104], v19 offset:16640
	ds_load_b128 v[105:108], v18
	ds_load_b128 v[109:112], v18 offset:256
	ds_load_b128 v[113:116], v19 offset:16896
	;; [unrolled: 1-line block ×20, first 2 shown]
	s_wait_dscnt 0x14
	v_dot2_f32_f16 v86, v105, v97, v86
	v_dot2_f32_f16 v85, v105, v98, v85
	;; [unrolled: 1-line block ×32, first 2 shown]
	s_wait_dscnt 0x13
	v_dot2_f32_f16 v106, v109, v97, v35
	v_dot2_f32_f16 v107, v109, v98, v34
	;; [unrolled: 1-line block ×16, first 2 shown]
	ds_load_b128 v[54:57], v18 offset:2816
	ds_load_b128 v[28:31], v18 offset:3072
	v_dot2_f32_f16 v27, v109, v101, v27
	v_dot2_f32_f16 v97, v109, v102, v26
	;; [unrolled: 1-line block ×16, first 2 shown]
	s_wait_dscnt 0x12
	v_dot2_f32_f16 v86, v121, v113, v86
	v_dot2_f32_f16 v85, v121, v114, v85
	;; [unrolled: 1-line block ×32, first 2 shown]
	s_wait_dscnt 0x11
	v_dot2_f32_f16 v106, v125, v113, v106
	v_dot2_f32_f16 v107, v125, v114, v107
	;; [unrolled: 1-line block ×16, first 2 shown]
	ds_load_b128 v[23:26], v19 offset:19456
	ds_load_b128 v[32:35], v19 offset:19712
	;; [unrolled: 1-line block ×4, first 2 shown]
	v_dot2_f32_f16 v27, v125, v117, v27
	v_dot2_f32_f16 v97, v125, v118, v97
	;; [unrolled: 1-line block ×16, first 2 shown]
	s_wait_dscnt 0x12
	v_dot2_f32_f16 v86, v137, v129, v86
	v_dot2_f32_f16 v85, v137, v130, v85
	;; [unrolled: 1-line block ×32, first 2 shown]
	s_wait_dscnt 0x11
	v_dot2_f32_f16 v106, v141, v129, v106
	v_dot2_f32_f16 v107, v141, v130, v107
	;; [unrolled: 1-line block ×16, first 2 shown]
	ds_load_b128 v[44:47], v19 offset:19968
	ds_load_b128 v[48:51], v19 offset:20224
	;; [unrolled: 1-line block ×4, first 2 shown]
	v_dot2_f32_f16 v27, v141, v133, v27
	v_dot2_f32_f16 v97, v141, v134, v97
	;; [unrolled: 1-line block ×16, first 2 shown]
	s_wait_dscnt 0x12
	v_dot2_f32_f16 v86, v153, v145, v86
	v_dot2_f32_f16 v133, v153, v146, v85
	v_dot2_f32_f16 v134, v153, v147, v84
	v_dot2_f32_f16 v135, v153, v148, v83
	v_dot2_f32_f16 v136, v154, v145, v82
	v_dot2_f32_f16 v141, v154, v146, v81
	v_dot2_f32_f16 v142, v154, v147, v80
	v_dot2_f32_f16 v143, v154, v148, v79
	v_dot2_f32_f16 v144, v155, v145, v75
	v_dot2_f32_f16 v120, v155, v146, v120
	v_dot2_f32_f16 v126, v155, v147, v126
	v_dot2_f32_f16 v127, v155, v148, v127
	v_dot2_f32_f16 v128, v156, v145, v128
	v_dot2_f32_f16 v87, v156, v146, v87
	v_dot2_f32_f16 v88, v156, v147, v88
	v_dot2_f32_f16 v101, v156, v148, v101
	v_dot2_f32_f16 v193, v153, v149, v78
	v_dot2_f32_f16 v196, v153, v150, v77
	v_dot2_f32_f16 v197, v153, v151, v76
	v_dot2_f32_f16 v153, v153, v152, v74
	v_dot2_f32_f16 v137, v154, v149, v137
	v_dot2_f32_f16 v194, v154, v150, v194
	v_dot2_f32_f16 v195, v154, v151, v195
	v_dot2_f32_f16 v138, v154, v152, v138
	v_dot2_f32_f16 v102, v155, v149, v102
	v_dot2_f32_f16 v52, v155, v150, v52
	v_dot2_f32_f16 v103, v155, v151, v103
	v_dot2_f32_f16 v104, v155, v152, v104
	v_dot2_f32_f16 v105, v156, v149, v105
	v_dot2_f32_f16 v111, v156, v150, v111
	v_dot2_f32_f16 v112, v156, v151, v112
	v_dot2_f32_f16 v121, v156, v152, v121
	s_wait_dscnt 0x11
	v_dot2_f32_f16 v106, v157, v145, v106
	v_dot2_f32_f16 v107, v157, v146, v107
	;; [unrolled: 1-line block ×16, first 2 shown]
	ds_load_b128 v[66:69], v19 offset:20480
	ds_load_b128 v[70:73], v19 offset:20736
	ds_load_b128 v[74:77], v18 offset:4352
	ds_load_b128 v[78:81], v18 offset:4608
	v_dot2_f32_f16 v27, v157, v149, v27
	v_dot2_f32_f16 v145, v157, v150, v97
	;; [unrolled: 1-line block ×16, first 2 shown]
	s_wait_dscnt 0x12
	v_dot2_f32_f16 v86, v169, v161, v86
	v_dot2_f32_f16 v133, v169, v162, v133
	;; [unrolled: 1-line block ×32, first 2 shown]
	s_wait_dscnt 0x11
	v_dot2_f32_f16 v172, v173, v161, v106
	v_dot2_f32_f16 v191, v173, v162, v107
	;; [unrolled: 1-line block ×16, first 2 shown]
	ds_load_b128 v[82:85], v19 offset:20992
	ds_load_b128 v[97:100], v19 offset:21248
	;; [unrolled: 1-line block ×4, first 2 shown]
	v_dot2_f32_f16 v27, v173, v165, v27
	v_dot2_f32_f16 v145, v173, v166, v145
	v_dot2_f32_f16 v146, v173, v167, v146
	v_dot2_f32_f16 v147, v173, v168, v147
	v_dot2_f32_f16 v148, v174, v165, v148
	v_dot2_f32_f16 v161, v174, v166, v109
	v_dot2_f32_f16 v162, v174, v167, v113
	v_dot2_f32_f16 v163, v174, v168, v110
	v_dot2_f32_f16 v164, v175, v165, v114
	v_dot2_f32_f16 v173, v175, v166, v115
	v_dot2_f32_f16 v174, v175, v167, v116
	v_dot2_f32_f16 v125, v175, v168, v125
	v_dot2_f32_f16 v165, v176, v165, v117
	v_dot2_f32_f16 v53, v176, v166, v53
	v_dot2_f32_f16 v166, v176, v167, v118
	v_dot2_f32_f16 v167, v176, v168, v119
	s_wait_dscnt 0x13
	v_dot2_f32_f16 v86, v177, v181, v86
	v_dot2_f32_f16 v133, v177, v182, v133
	v_dot2_f32_f16 v134, v177, v183, v134
	v_dot2_f32_f16 v135, v177, v184, v135
	v_dot2_f32_f16 v136, v178, v181, v136
	v_dot2_f32_f16 v141, v178, v182, v141
	v_dot2_f32_f16 v142, v178, v183, v142
	v_dot2_f32_f16 v143, v178, v184, v143
	v_dot2_f32_f16 v144, v179, v181, v144
	v_dot2_f32_f16 v168, v179, v182, v120
	v_dot2_f32_f16 v175, v179, v183, v126
	v_dot2_f32_f16 v176, v179, v184, v127
	v_dot2_f32_f16 v193, v180, v181, v128
	v_dot2_f32_f16 v87, v180, v182, v87
	v_dot2_f32_f16 v88, v180, v183, v88
	v_dot2_f32_f16 v149, v180, v184, v149
	s_wait_dscnt 0x12
	;; [unrolled: 17-line block ×3, first 2 shown]
	v_dot2_f32_f16 v172, v54, v181, v172
	v_dot2_f32_f16 v180, v54, v182, v191
	;; [unrolled: 1-line block ×16, first 2 shown]
	ds_load_b128 v[109:112], v19 offset:21504
	ds_load_b128 v[113:116], v19 offset:21760
	ds_load_b128 v[117:120], v18 offset:5376
	ds_load_b128 v[121:124], v18 offset:5632
	v_dot2_f32_f16 v181, v54, v185, v27
	v_dot2_f32_f16 v145, v54, v186, v145
	v_dot2_f32_f16 v146, v54, v187, v146
	v_dot2_f32_f16 v147, v54, v188, v147
	v_dot2_f32_f16 v148, v55, v185, v148
	v_dot2_f32_f16 v161, v55, v186, v161
	v_dot2_f32_f16 v162, v55, v187, v162
	v_dot2_f32_f16 v163, v55, v188, v163
	v_dot2_f32_f16 v164, v56, v185, v164
	v_dot2_f32_f16 v173, v56, v186, v173
	v_dot2_f32_f16 v174, v56, v187, v174
	v_dot2_f32_f16 v56, v56, v188, v125
	v_dot2_f32_f16 v165, v57, v185, v165
	v_dot2_f32_f16 v182, v57, v186, v53
	v_dot2_f32_f16 v166, v57, v187, v166
	v_dot2_f32_f16 v57, v57, v188, v167
	s_wait_dscnt 0x13
	v_dot2_f32_f16 v86, v28, v23, v86
	v_dot2_f32_f16 v133, v28, v24, v133
	v_dot2_f32_f16 v134, v28, v25, v134
	v_dot2_f32_f16 v135, v28, v26, v135
	v_dot2_f32_f16 v136, v29, v23, v136
	v_dot2_f32_f16 v141, v29, v24, v141
	v_dot2_f32_f16 v142, v29, v25, v142
	v_dot2_f32_f16 v143, v29, v26, v143
	v_dot2_f32_f16 v144, v30, v23, v144
	v_dot2_f32_f16 v167, v30, v24, v168
	v_dot2_f32_f16 v168, v30, v25, v175
	v_dot2_f32_f16 v175, v30, v26, v176
	v_dot2_f32_f16 v176, v31, v23, v193
	v_dot2_f32_f16 v87, v31, v24, v87
	v_dot2_f32_f16 v88, v31, v25, v88
	v_dot2_f32_f16 v149, v31, v26, v149
	s_wait_dscnt 0x12
	;; [unrolled: 17-line block ×3, first 2 shown]
	v_dot2_f32_f16 v172, v36, v23, v172
	v_dot2_f32_f16 v180, v36, v24, v180
	;; [unrolled: 1-line block ×32, first 2 shown]
	s_wait_dscnt 0xf
	v_dot2_f32_f16 v86, v40, v44, v86
	v_dot2_f32_f16 v133, v40, v45, v133
	v_dot2_f32_f16 v134, v40, v46, v134
	v_dot2_f32_f16 v135, v40, v47, v135
	v_dot2_f32_f16 v136, v41, v44, v136
	v_dot2_f32_f16 v141, v41, v45, v141
	v_dot2_f32_f16 v142, v41, v46, v142
	v_dot2_f32_f16 v143, v41, v47, v143
	v_dot2_f32_f16 v144, v42, v44, v144
	v_dot2_f32_f16 v167, v42, v45, v167
	v_dot2_f32_f16 v168, v42, v46, v168
	v_dot2_f32_f16 v175, v42, v47, v175
	v_dot2_f32_f16 v176, v43, v44, v176
	v_dot2_f32_f16 v87, v43, v45, v87
	v_dot2_f32_f16 v88, v43, v46, v88
	v_dot2_f32_f16 v149, v43, v47, v149
	s_wait_dscnt 0xe
	v_dot2_f32_f16 v150, v40, v48, v150
	v_dot2_f32_f16 v151, v40, v49, v151
	v_dot2_f32_f16 v152, v40, v50, v152
	v_dot2_f32_f16 v153, v40, v51, v153
	v_dot2_f32_f16 v137, v41, v48, v137
	v_dot2_f32_f16 v157, v41, v49, v157
	v_dot2_f32_f16 v158, v41, v50, v158
	v_dot2_f32_f16 v138, v41, v51, v138
	v_dot2_f32_f16 v159, v42, v48, v159
	v_dot2_f32_f16 v177, v42, v49, v177
	v_dot2_f32_f16 v160, v42, v50, v160
	v_dot2_f32_f16 v169, v42, v51, v169
	v_dot2_f32_f16 v170, v43, v48, v170
	v_dot2_f32_f16 v171, v43, v49, v171
	v_dot2_f32_f16 v178, v43, v50, v178
	v_dot2_f32_f16 v179, v43, v51, v179
	s_wait_dscnt 0xd
	v_dot2_f32_f16 v172, v58, v44, v172
	v_dot2_f32_f16 v180, v58, v45, v180
	v_dot2_f32_f16 v183, v58, v46, v183
	v_dot2_f32_f16 v184, v58, v47, v184
	v_dot2_f32_f16 v185, v59, v44, v185
	v_dot2_f32_f16 v186, v59, v45, v186
	v_dot2_f32_f16 v139, v59, v46, v139
	v_dot2_f32_f16 v140, v59, v47, v140
	v_dot2_f32_f16 v154, v60, v44, v154
	v_dot2_f32_f16 v155, v60, v45, v155
	v_dot2_f32_f16 v156, v60, v46, v156
	v_dot2_f32_f16 v187, v60, v47, v187
	v_dot2_f32_f16 v129, v61, v44, v129
	v_dot2_f32_f16 v130, v61, v45, v130
	v_dot2_f32_f16 v131, v61, v46, v131
	v_dot2_f32_f16 v132, v61, v47, v132
	v_dot2_f32_f16 v181, v58, v48, v181
	v_dot2_f32_f16 v145, v58, v49, v145
	v_dot2_f32_f16 v146, v58, v50, v146
	v_dot2_f32_f16 v147, v58, v51, v147
	v_dot2_f32_f16 v148, v59, v48, v148
	v_dot2_f32_f16 v161, v59, v49, v161
	v_dot2_f32_f16 v162, v59, v50, v162
	v_dot2_f32_f16 v163, v59, v51, v163
	v_dot2_f32_f16 v164, v60, v48, v164
	v_dot2_f32_f16 v173, v60, v49, v173
	v_dot2_f32_f16 v174, v60, v50, v174
	v_dot2_f32_f16 v188, v60, v51, v56
	v_dot2_f32_f16 v165, v61, v48, v165
	v_dot2_f32_f16 v182, v61, v49, v182
	v_dot2_f32_f16 v166, v61, v50, v166
	v_dot2_f32_f16 v51, v61, v51, v57
	s_wait_dscnt 0xb
	v_dot2_f32_f16 v86, v62, v66, v86
	v_dot2_f32_f16 v133, v62, v67, v133
	v_dot2_f32_f16 v134, v62, v68, v134
	v_dot2_f32_f16 v135, v62, v69, v135
	v_dot2_f32_f16 v136, v63, v66, v136
	v_dot2_f32_f16 v141, v63, v67, v141
	v_dot2_f32_f16 v142, v63, v68, v142
	v_dot2_f32_f16 v143, v63, v69, v143
	v_dot2_f32_f16 v144, v64, v66, v144
	v_dot2_f32_f16 v167, v64, v67, v167
	v_dot2_f32_f16 v168, v64, v68, v168
	v_dot2_f32_f16 v175, v64, v69, v175
	v_dot2_f32_f16 v176, v65, v66, v176
	v_dot2_f32_f16 v87, v65, v67, v87
	v_dot2_f32_f16 v88, v65, v68, v88
	v_dot2_f32_f16 v149, v65, v69, v149
	s_wait_dscnt 0xa
	;; [unrolled: 17-line block ×3, first 2 shown]
	v_dot2_f32_f16 v172, v74, v66, v172
	v_dot2_f32_f16 v180, v74, v67, v180
	;; [unrolled: 1-line block ×16, first 2 shown]
	v_add_nc_u32_e32 v91, s30, v22
	v_add_nc_u32_e32 v89, s27, v22
	;; [unrolled: 1-line block ×3, first 2 shown]
	v_dot2_f32_f16 v181, v74, v70, v181
	v_dot2_f32_f16 v145, v74, v71, v145
	v_dot2_f32_f16 v146, v74, v72, v146
	v_dot2_f32_f16 v147, v74, v73, v147
	v_dot2_f32_f16 v148, v75, v70, v148
	v_dot2_f32_f16 v161, v75, v71, v161
	v_dot2_f32_f16 v162, v75, v72, v162
	v_dot2_f32_f16 v163, v75, v73, v163
	v_dot2_f32_f16 v164, v76, v70, v164
	v_dot2_f32_f16 v173, v76, v71, v173
	v_dot2_f32_f16 v174, v76, v72, v174
	v_dot2_f32_f16 v188, v76, v73, v188
	v_dot2_f32_f16 v165, v77, v70, v165
	v_dot2_f32_f16 v182, v77, v71, v182
	v_dot2_f32_f16 v166, v77, v72, v166
	v_dot2_f32_f16 v51, v77, v73, v51
	s_wait_dscnt 0x7
	v_dot2_f32_f16 v189, v78, v82, v86
	v_dot2_f32_f16 v133, v78, v83, v133
	v_dot2_f32_f16 v134, v78, v84, v134
	v_dot2_f32_f16 v135, v78, v85, v135
	v_dot2_f32_f16 v136, v79, v82, v136
	v_dot2_f32_f16 v141, v79, v83, v141
	v_dot2_f32_f16 v142, v79, v84, v142
	v_dot2_f32_f16 v143, v79, v85, v143
	v_dot2_f32_f16 v144, v80, v82, v144
	v_dot2_f32_f16 v167, v80, v83, v167
	v_dot2_f32_f16 v168, v80, v84, v168
	v_dot2_f32_f16 v175, v80, v85, v175
	v_dot2_f32_f16 v176, v81, v82, v176
	v_dot2_f32_f16 v190, v81, v83, v87
	v_dot2_f32_f16 v88, v81, v84, v88
	v_dot2_f32_f16 v149, v81, v85, v149
	s_wait_dscnt 0x6
	;; [unrolled: 17-line block ×3, first 2 shown]
	v_dot2_f32_f16 v172, v101, v82, v172
	v_dot2_f32_f16 v180, v101, v83, v180
	;; [unrolled: 1-line block ×16, first 2 shown]
	v_add_nc_u32_e32 v92, s29, v22
	v_add_nc_u32_e32 v93, s22, v21
	;; [unrolled: 1-line block ×5, first 2 shown]
	ds_load_b128 v[52:55], v19 offset:22016
	ds_load_b128 v[125:128], v19 offset:22272
	;; [unrolled: 1-line block ×16, first 2 shown]
	v_dot2_f32_f16 v181, v101, v97, v181
	v_dot2_f32_f16 v145, v101, v98, v145
	;; [unrolled: 1-line block ×16, first 2 shown]
	ds_load_b128 v[84:87], v19 offset:24064
	ds_load_b128 v[97:100], v19 offset:24320
	s_wait_dscnt 0x15
	v_dot2_f32_f16 v189, v105, v109, v189
	v_dot2_f32_f16 v133, v105, v110, v133
	;; [unrolled: 1-line block ×16, first 2 shown]
	s_wait_dscnt 0x14
	v_dot2_f32_f16 v150, v105, v113, v150
	v_dot2_f32_f16 v151, v105, v114, v151
	;; [unrolled: 1-line block ×16, first 2 shown]
	ds_load_b128 v[101:104], v18 offset:7936
	s_clause 0x2
	buffer_load_b64 v[105:106], v91, s[0:3], null offen
	buffer_load_b64 v[91:92], v92, s[0:3], null offen
	;; [unrolled: 1-line block ×3, first 2 shown]
	s_wait_dscnt 0x14
	v_dot2_f32_f16 v172, v117, v109, v172
	v_dot2_f32_f16 v180, v117, v110, v180
	;; [unrolled: 1-line block ×16, first 2 shown]
	buffer_load_b64 v[88:89], v89, s[0:3], null offen
	s_clause 0x3
	buffer_load_b64 v[109:110], v93, s[8:11], null offen
	buffer_load_b64 v[93:94], v94, s[8:11], null offen
	;; [unrolled: 1-line block ×4, first 2 shown]
	v_dot2_f32_f16 v181, v117, v113, v181
	v_dot2_f32_f16 v145, v117, v114, v145
	v_dot2_f32_f16 v146, v117, v115, v146
	v_dot2_f32_f16 v117, v117, v116, v147
	v_dot2_f32_f16 v147, v118, v113, v148
	v_dot2_f32_f16 v148, v118, v114, v161
	v_dot2_f32_f16 v161, v118, v115, v162
	v_dot2_f32_f16 v118, v118, v116, v163
	v_dot2_f32_f16 v162, v119, v113, v164
	v_dot2_f32_f16 v163, v119, v114, v173
	v_dot2_f32_f16 v164, v119, v115, v174
	v_dot2_f32_f16 v119, v119, v116, v188
	v_dot2_f32_f16 v113, v120, v113, v165
	v_dot2_f32_f16 v114, v120, v114, v182
	v_dot2_f32_f16 v115, v120, v115, v166
	v_dot2_f32_f16 v51, v120, v116, v51
	s_wait_dscnt 0x12
	v_dot2_f32_f16 v90, v121, v52, v189
	v_dot2_f32_f16 v116, v121, v53, v133
	v_dot2_f32_f16 v120, v121, v54, v134
	v_dot2_f32_f16 v133, v121, v55, v135
	v_dot2_f32_f16 v134, v122, v52, v136
	v_dot2_f32_f16 v135, v122, v53, v141
	v_dot2_f32_f16 v136, v122, v54, v142
	v_dot2_f32_f16 v141, v122, v55, v143
	v_dot2_f32_f16 v142, v123, v52, v144
	v_dot2_f32_f16 v143, v123, v53, v167
	v_dot2_f32_f16 v144, v123, v54, v168
	v_dot2_f32_f16 v165, v123, v55, v175
	v_dot2_f32_f16 v166, v124, v52, v176
	v_dot2_f32_f16 v167, v124, v53, v190
	v_dot2_f32_f16 v168, v124, v54, v191
	v_dot2_f32_f16 v149, v124, v55, v149
	s_wait_dscnt 0x11
	;; [unrolled: 17-line block ×3, first 2 shown]
	v_dot2_f32_f16 v171, v27, v52, v172
	v_dot2_f32_f16 v172, v27, v53, v180
	;; [unrolled: 1-line block ×32, first 2 shown]
	s_wait_dscnt 0xe
	v_dot2_f32_f16 v51, v23, v31, v90
	v_dot2_f32_f16 v90, v23, v32, v116
	v_dot2_f32_f16 v116, v23, v33, v120
	v_dot2_f32_f16 v119, v23, v34, v133
	v_dot2_f32_f16 v120, v24, v31, v134
	v_dot2_f32_f16 v125, v24, v32, v135
	v_dot2_f32_f16 v126, v24, v33, v136
	v_dot2_f32_f16 v127, v24, v34, v141
	v_dot2_f32_f16 v128, v25, v31, v142
	v_dot2_f32_f16 v133, v25, v32, v143
	v_dot2_f32_f16 v134, v25, v33, v144
	v_dot2_f32_f16 v135, v25, v34, v165
	v_dot2_f32_f16 v136, v26, v31, v166
	v_dot2_f32_f16 v141, v26, v32, v167
	v_dot2_f32_f16 v142, v26, v33, v168
	v_dot2_f32_f16 v143, v26, v34, v149
	s_wait_dscnt 0xd
	v_dot2_f32_f16 v144, v23, v35, v150
	v_dot2_f32_f16 v148, v23, v36, v151
	v_dot2_f32_f16 v149, v23, v37, v152
	v_dot2_f32_f16 v23, v23, v38, v121
	v_dot2_f32_f16 v121, v24, v35, v137
	v_dot2_f32_f16 v137, v24, v36, v153
	v_dot2_f32_f16 v150, v24, v37, v157
	v_dot2_f32_f16 v24, v24, v38, v122
	v_dot2_f32_f16 v122, v25, v35, v138
	v_dot2_f32_f16 v138, v25, v36, v158
	v_dot2_f32_f16 v151, v25, v37, v159
	v_dot2_f32_f16 v25, v25, v38, v123
	v_dot2_f32_f16 v123, v26, v35, v160
	v_dot2_f32_f16 v152, v26, v36, v169
	v_dot2_f32_f16 v153, v26, v37, v170
	v_dot2_f32_f16 v26, v26, v38, v124
	;; [unrolled: 17-line block ×3, first 2 shown]
	v_dot2_f32_f16 v52, v39, v35, v129
	v_dot2_f32_f16 v53, v39, v36, v130
	v_dot2_f32_f16 v54, v39, v37, v131
	v_dot2_f32_f16 v27, v39, v38, v27
	v_dot2_f32_f16 v39, v40, v35, v117
	v_dot2_f32_f16 v55, v40, v36, v132
	v_dot2_f32_f16 v117, v40, v37, v145
	v_dot2_f32_f16 v28, v40, v38, v28
	v_dot2_f32_f16 v40, v41, v35, v118
	v_dot2_f32_f16 v118, v41, v36, v146
	v_dot2_f32_f16 v129, v41, v37, v147
	v_dot2_f32_f16 v29, v41, v38, v29
	v_dot2_f32_f16 v35, v42, v35, v113
	v_dot2_f32_f16 v36, v42, v36, v114
	v_dot2_f32_f16 v37, v42, v37, v115
	v_dot2_f32_f16 v30, v42, v38, v30
	s_wait_dscnt 0xa
	v_dot2_f32_f16 v38, v43, v47, v51
	v_dot2_f32_f16 v41, v43, v48, v90
	v_dot2_f32_f16 v42, v43, v49, v116
	v_dot2_f32_f16 v51, v43, v50, v119
	v_dot2_f32_f16 v90, v44, v47, v120
	v_dot2_f32_f16 v113, v44, v48, v125
	v_dot2_f32_f16 v114, v44, v49, v126
	v_dot2_f32_f16 v115, v44, v50, v127
	v_dot2_f32_f16 v116, v45, v47, v128
	v_dot2_f32_f16 v119, v45, v48, v133
	v_dot2_f32_f16 v120, v45, v49, v134
	v_dot2_f32_f16 v125, v45, v50, v135
	v_dot2_f32_f16 v126, v46, v47, v136
	v_dot2_f32_f16 v127, v46, v48, v141
	v_dot2_f32_f16 v128, v46, v49, v142
	v_dot2_f32_f16 v130, v46, v50, v143
	s_wait_dscnt 0x9
	;; [unrolled: 17-line block ×3, first 2 shown]
	v_dot2_f32_f16 v46, v60, v47, v124
	v_dot2_f32_f16 v124, v60, v48, v157
	;; [unrolled: 1-line block ×32, first 2 shown]
	s_wait_dscnt 0x6
	v_dot2_f32_f16 v38, v64, v68, v38
	v_dot2_f32_f16 v41, v64, v69, v41
	v_dot2_f32_f16 v42, v64, v70, v42
	v_dot2_f32_f16 v51, v64, v71, v51
	v_dot2_f32_f16 v55, v65, v68, v90
	v_dot2_f32_f16 v56, v65, v69, v113
	v_dot2_f32_f16 v57, v65, v70, v114
	v_dot2_f32_f16 v58, v65, v71, v115
	v_dot2_f32_f16 v59, v66, v68, v116
	v_dot2_f32_f16 v60, v66, v69, v119
	v_dot2_f32_f16 v61, v66, v70, v120
	v_dot2_f32_f16 v62, v66, v71, v125
	v_dot2_f32_f16 v63, v67, v68, v126
	v_dot2_f32_f16 v90, v67, v69, v127
	v_dot2_f32_f16 v113, v67, v70, v128
	v_dot2_f32_f16 v114, v67, v71, v130
	s_wait_dscnt 0x5
	v_dot2_f32_f16 v115, v64, v72, v131
	v_dot2_f32_f16 v116, v64, v73, v132
	v_dot2_f32_f16 v117, v64, v74, v133
	v_dot2_f32_f16 v23, v64, v75, v23
	v_dot2_f32_f16 v43, v65, v72, v43
	v_dot2_f32_f16 v64, v65, v73, v121
	v_dot2_f32_f16 v118, v65, v74, v134
	v_dot2_f32_f16 v24, v65, v75, v24
	v_dot2_f32_f16 v44, v66, v72, v44
	v_dot2_f32_f16 v65, v66, v73, v122
	v_dot2_f32_f16 v119, v66, v74, v135
	v_dot2_f32_f16 v25, v66, v75, v25
	v_dot2_f32_f16 v45, v67, v72, v45
	v_dot2_f32_f16 v66, v67, v73, v123
	v_dot2_f32_f16 v120, v67, v74, v136
	v_dot2_f32_f16 v26, v67, v75, v26
	;; [unrolled: 17-line block ×3, first 2 shown]
	v_dot2_f32_f16 v47, v76, v72, v47
	v_dot2_f32_f16 v48, v76, v73, v48
	v_dot2_f32_f16 v49, v76, v74, v49
	v_dot2_f32_f16 v27, v76, v75, v27
	v_dot2_f32_f16 v39, v77, v72, v39
	v_dot2_f32_f16 v50, v77, v73, v50
	v_dot2_f32_f16 v52, v77, v74, v52
	v_dot2_f32_f16 v28, v77, v75, v28
	v_dot2_f32_f16 v40, v78, v72, v40
	v_dot2_f32_f16 v53, v78, v73, v53
	v_dot2_f32_f16 v54, v78, v74, v54
	v_dot2_f32_f16 v29, v78, v75, v29
	v_dot2_f32_f16 v35, v79, v72, v35
	v_dot2_f32_f16 v36, v79, v73, v36
	v_dot2_f32_f16 v37, v79, v74, v37
	v_dot2_f32_f16 v30, v79, v75, v30
	s_wait_dscnt 0x2
	v_dot2_f32_f16 v131, v80, v84, v38
	v_dot2_f32_f16 v132, v80, v85, v41
	v_dot2_f32_f16 v133, v80, v86, v42
	v_dot2_f32_f16 v134, v80, v87, v51
	v_dot2_f32_f16 v135, v81, v84, v55
	v_dot2_f32_f16 v136, v81, v85, v56
	v_dot2_f32_f16 v137, v81, v86, v57
	v_dot2_f32_f16 v138, v81, v87, v58
	v_dot2_f32_f16 v139, v82, v84, v59
	v_dot2_f32_f16 v140, v82, v85, v60
	v_dot2_f32_f16 v141, v82, v86, v61
	v_dot2_f32_f16 v142, v82, v87, v62
	v_dot2_f32_f16 v143, v83, v84, v63
	v_dot2_f32_f16 v144, v83, v85, v90
	v_dot2_f32_f16 v145, v83, v86, v113
	v_dot2_f32_f16 v146, v83, v87, v114
	s_wait_dscnt 0x1
	v_dot2_f32_f16 v147, v80, v97, v115
	v_dot2_f32_f16 v148, v80, v98, v116
	v_dot2_f32_f16 v149, v80, v99, v117
	v_dot2_f32_f16 v150, v80, v100, v23
	v_dot2_f32_f16 v151, v81, v97, v43
	v_dot2_f32_f16 v152, v81, v98, v64
	v_dot2_f32_f16 v153, v81, v99, v118
	v_dot2_f32_f16 v154, v81, v100, v24
	v_dot2_f32_f16 v155, v82, v97, v44
	v_dot2_f32_f16 v156, v82, v98, v65
	v_dot2_f32_f16 v157, v82, v99, v119
	v_dot2_f32_f16 v158, v82, v100, v25
	v_dot2_f32_f16 v159, v83, v97, v45
	v_dot2_f32_f16 v160, v83, v98, v66
	v_dot2_f32_f16 v161, v83, v99, v120
	v_dot2_f32_f16 v162, v83, v100, v26
	s_wait_dscnt 0x0
	v_dot2_f32_f16 v163, v101, v84, v46
	v_dot2_f32_f16 v164, v101, v85, v67
	;; [unrolled: 1-line block ×32, first 2 shown]
	s_wait_loadcnt 0xe
	v_perm_b32 v26, v15, v13, 0x7060302
	v_perm_b32 v24, v14, v12, 0x7060302
	v_perm_b32 v23, v14, v12, 0x5040100
	v_perm_b32 v25, v15, v13, 0x5040100
	s_wait_loadcnt 0xc
	v_perm_b32 v30, v9, v11, 0x7060302
	v_perm_b32 v28, v8, v10, 0x7060302
	v_perm_b32 v27, v8, v10, 0x5040100
	v_perm_b32 v29, v9, v11, 0x5040100
	;; [unrolled: 5-line block ×8, first 2 shown]
	ds_store_b128 v20, v[23:26] offset:8192
	ds_store_b128 v20, v[27:30] offset:8704
	;; [unrolled: 1-line block ×4, first 2 shown]
	s_wait_dscnt 0x0
	s_barrier_signal -1
	s_barrier_wait -1
	ds_load_b128 v[23:26], v19 offset:24576
	ds_load_b128 v[27:30], v19 offset:24832
	;; [unrolled: 1-line block ×25, first 2 shown]
	s_wait_dscnt 0x16
	v_dot2_f32_f16 v131, v31, v23, v131
	v_dot2_f32_f16 v132, v31, v24, v132
	v_dot2_f32_f16 v133, v31, v25, v133
	v_dot2_f32_f16 v134, v31, v26, v134
	v_dot2_f32_f16 v135, v32, v23, v135
	v_dot2_f32_f16 v136, v32, v24, v136
	v_dot2_f32_f16 v137, v32, v25, v137
	v_dot2_f32_f16 v138, v32, v26, v138
	v_dot2_f32_f16 v139, v33, v23, v139
	v_dot2_f32_f16 v140, v33, v24, v140
	v_dot2_f32_f16 v141, v33, v25, v141
	v_dot2_f32_f16 v142, v33, v26, v142
	v_dot2_f32_f16 v143, v34, v23, v143
	v_dot2_f32_f16 v144, v34, v24, v144
	v_dot2_f32_f16 v145, v34, v25, v145
	v_dot2_f32_f16 v146, v34, v26, v146
	v_dot2_f32_f16 v147, v31, v27, v147
	v_dot2_f32_f16 v148, v31, v28, v148
	v_dot2_f32_f16 v149, v31, v29, v149
	v_dot2_f32_f16 v150, v31, v30, v150
	v_dot2_f32_f16 v151, v32, v27, v151
	v_dot2_f32_f16 v152, v32, v28, v152
	v_dot2_f32_f16 v153, v32, v29, v153
	v_dot2_f32_f16 v154, v32, v30, v154
	v_dot2_f32_f16 v155, v33, v27, v155
	v_dot2_f32_f16 v156, v33, v28, v156
	v_dot2_f32_f16 v157, v33, v29, v157
	v_dot2_f32_f16 v158, v33, v30, v158
	v_dot2_f32_f16 v159, v34, v27, v159
	v_dot2_f32_f16 v160, v34, v28, v160
	v_dot2_f32_f16 v161, v34, v29, v161
	v_dot2_f32_f16 v162, v34, v30, v162
	s_wait_dscnt 0x15
	v_dot2_f32_f16 v163, v35, v23, v163
	v_dot2_f32_f16 v164, v35, v24, v164
	v_dot2_f32_f16 v165, v35, v25, v165
	v_dot2_f32_f16 v166, v35, v26, v166
	v_dot2_f32_f16 v123, v36, v23, v123
	v_dot2_f32_f16 v124, v36, v24, v124
	v_dot2_f32_f16 v125, v36, v25, v125
	v_dot2_f32_f16 v126, v36, v26, v126
	v_dot2_f32_f16 v127, v37, v23, v127
	v_dot2_f32_f16 v128, v37, v24, v128
	v_dot2_f32_f16 v129, v37, v25, v129
	v_dot2_f32_f16 v130, v37, v26, v130
	v_dot2_f32_f16 v167, v38, v23, v167
	v_dot2_f32_f16 v168, v38, v24, v168
	v_dot2_f32_f16 v169, v38, v25, v169
	v_dot2_f32_f16 v170, v38, v26, v170
	v_dot2_f32_f16 v171, v35, v27, v171
	v_dot2_f32_f16 v172, v35, v28, v172
	v_dot2_f32_f16 v173, v35, v29, v173
	v_dot2_f32_f16 v174, v35, v30, v174
	v_dot2_f32_f16 v175, v36, v27, v175
	v_dot2_f32_f16 v176, v36, v28, v176
	v_dot2_f32_f16 v177, v36, v29, v177
	v_dot2_f32_f16 v178, v36, v30, v178
	v_dot2_f32_f16 v179, v37, v27, v179
	v_dot2_f32_f16 v180, v37, v28, v180
	v_dot2_f32_f16 v181, v37, v29, v181
	v_dot2_f32_f16 v182, v37, v30, v182
	v_dot2_f32_f16 v183, v38, v27, v183
	v_dot2_f32_f16 v184, v38, v28, v184
	v_dot2_f32_f16 v185, v38, v29, v185
	v_dot2_f32_f16 v186, v38, v30, v186
	;; [unrolled: 33-line block ×4, first 2 shown]
	ds_load_b128 v[31:34], v19 offset:27648
	ds_load_b128 v[23:26], v19 offset:27904
	s_wait_dscnt 0x10
	v_dot2_f32_f16 v131, v63, v55, v131
	v_dot2_f32_f16 v132, v63, v56, v132
	;; [unrolled: 1-line block ×32, first 2 shown]
	s_wait_dscnt 0xf
	v_dot2_f32_f16 v163, v67, v55, v163
	v_dot2_f32_f16 v164, v67, v56, v164
	;; [unrolled: 1-line block ×32, first 2 shown]
	ds_load_b128 v[27:30], v18 offset:11520
	ds_load_b128 v[35:38], v18 offset:11776
	;; [unrolled: 1-line block ×4, first 2 shown]
	s_wait_dscnt 0x10
	v_dot2_f32_f16 v131, v79, v71, v131
	v_dot2_f32_f16 v132, v79, v72, v132
	;; [unrolled: 1-line block ×32, first 2 shown]
	s_wait_dscnt 0xf
	v_dot2_f32_f16 v163, v83, v71, v163
	v_dot2_f32_f16 v164, v83, v72, v164
	;; [unrolled: 1-line block ×32, first 2 shown]
	ds_load_b128 v[43:46], v18 offset:12032
	ds_load_b128 v[51:54], v18 offset:12288
	;; [unrolled: 1-line block ×4, first 2 shown]
	s_wait_dscnt 0x10
	v_dot2_f32_f16 v131, v95, v87, v131
	v_dot2_f32_f16 v132, v95, v88, v132
	;; [unrolled: 1-line block ×32, first 2 shown]
	s_wait_dscnt 0xf
	v_dot2_f32_f16 v163, v99, v87, v163
	v_dot2_f32_f16 v164, v99, v88, v164
	;; [unrolled: 1-line block ×32, first 2 shown]
	ds_load_b128 v[59:62], v18 offset:12544
	ds_load_b128 v[67:70], v18 offset:12800
	;; [unrolled: 1-line block ×4, first 2 shown]
	s_wait_dscnt 0x10
	v_dot2_f32_f16 v131, v111, v103, v131
	v_dot2_f32_f16 v132, v111, v104, v132
	;; [unrolled: 1-line block ×32, first 2 shown]
	s_wait_dscnt 0xf
	v_dot2_f32_f16 v163, v115, v103, v163
	v_dot2_f32_f16 v164, v115, v104, v164
	;; [unrolled: 1-line block ×32, first 2 shown]
	ds_load_b128 v[75:78], v18 offset:13056
	ds_load_b128 v[83:86], v18 offset:13312
	;; [unrolled: 1-line block ×4, first 2 shown]
	s_wait_dscnt 0x11
	v_dot2_f32_f16 v131, v119, v31, v131
	v_dot2_f32_f16 v132, v119, v32, v132
	v_dot2_f32_f16 v133, v119, v33, v133
	v_dot2_f32_f16 v134, v119, v34, v134
	v_dot2_f32_f16 v135, v120, v31, v135
	v_dot2_f32_f16 v136, v120, v32, v136
	v_dot2_f32_f16 v137, v120, v33, v137
	v_dot2_f32_f16 v138, v120, v34, v138
	v_dot2_f32_f16 v139, v121, v31, v139
	v_dot2_f32_f16 v140, v121, v32, v140
	v_dot2_f32_f16 v141, v121, v33, v141
	v_dot2_f32_f16 v142, v121, v34, v142
	v_dot2_f32_f16 v143, v122, v31, v143
	v_dot2_f32_f16 v144, v122, v32, v144
	v_dot2_f32_f16 v145, v122, v33, v145
	v_dot2_f32_f16 v146, v122, v34, v146
	s_wait_dscnt 0x10
	v_dot2_f32_f16 v147, v119, v23, v147
	v_dot2_f32_f16 v148, v119, v24, v148
	v_dot2_f32_f16 v149, v119, v25, v149
	v_dot2_f32_f16 v150, v119, v26, v150
	v_dot2_f32_f16 v151, v120, v23, v151
	v_dot2_f32_f16 v152, v120, v24, v152
	v_dot2_f32_f16 v153, v120, v25, v153
	v_dot2_f32_f16 v154, v120, v26, v154
	v_dot2_f32_f16 v155, v121, v23, v155
	v_dot2_f32_f16 v156, v121, v24, v156
	v_dot2_f32_f16 v157, v121, v25, v157
	v_dot2_f32_f16 v158, v121, v26, v158
	v_dot2_f32_f16 v159, v122, v23, v159
	v_dot2_f32_f16 v160, v122, v24, v160
	v_dot2_f32_f16 v161, v122, v25, v161
	v_dot2_f32_f16 v162, v122, v26, v162
	;; [unrolled: 17-line block ×3, first 2 shown]
	v_dot2_f32_f16 v171, v27, v23, v171
	v_dot2_f32_f16 v172, v27, v24, v172
	;; [unrolled: 1-line block ×16, first 2 shown]
	ds_load_b128 v[91:94], v18 offset:13568
	ds_load_b128 v[99:102], v18 offset:13824
	ds_load_b128 v[111:114], v19 offset:30208
	ds_load_b128 v[103:106], v19 offset:30464
	s_wait_dscnt 0x11
	v_dot2_f32_f16 v131, v35, v47, v131
	v_dot2_f32_f16 v132, v35, v48, v132
	v_dot2_f32_f16 v133, v35, v49, v133
	v_dot2_f32_f16 v134, v35, v50, v134
	v_dot2_f32_f16 v135, v36, v47, v135
	v_dot2_f32_f16 v136, v36, v48, v136
	v_dot2_f32_f16 v137, v36, v49, v137
	v_dot2_f32_f16 v138, v36, v50, v138
	v_dot2_f32_f16 v139, v37, v47, v139
	v_dot2_f32_f16 v140, v37, v48, v140
	v_dot2_f32_f16 v141, v37, v49, v141
	v_dot2_f32_f16 v142, v37, v50, v142
	v_dot2_f32_f16 v143, v38, v47, v143
	v_dot2_f32_f16 v144, v38, v48, v144
	v_dot2_f32_f16 v145, v38, v49, v145
	v_dot2_f32_f16 v146, v38, v50, v146
	s_wait_dscnt 0x10
	v_dot2_f32_f16 v147, v35, v39, v147
	v_dot2_f32_f16 v148, v35, v40, v148
	v_dot2_f32_f16 v149, v35, v41, v149
	v_dot2_f32_f16 v150, v35, v42, v150
	v_dot2_f32_f16 v151, v36, v39, v151
	v_dot2_f32_f16 v152, v36, v40, v152
	v_dot2_f32_f16 v153, v36, v41, v153
	v_dot2_f32_f16 v154, v36, v42, v154
	v_dot2_f32_f16 v155, v37, v39, v155
	v_dot2_f32_f16 v156, v37, v40, v156
	v_dot2_f32_f16 v157, v37, v41, v157
	v_dot2_f32_f16 v158, v37, v42, v158
	v_dot2_f32_f16 v159, v38, v39, v159
	v_dot2_f32_f16 v160, v38, v40, v160
	v_dot2_f32_f16 v161, v38, v41, v161
	v_dot2_f32_f16 v162, v38, v42, v162
	s_wait_dscnt 0xf
	v_dot2_f32_f16 v163, v43, v47, v163
	v_dot2_f32_f16 v164, v43, v48, v164
	v_dot2_f32_f16 v165, v43, v49, v165
	v_dot2_f32_f16 v166, v43, v50, v166
	v_dot2_f32_f16 v123, v44, v47, v123
	v_dot2_f32_f16 v124, v44, v48, v124
	v_dot2_f32_f16 v125, v44, v49, v125
	v_dot2_f32_f16 v126, v44, v50, v126
	v_dot2_f32_f16 v127, v45, v47, v127
	v_dot2_f32_f16 v128, v45, v48, v128
	v_dot2_f32_f16 v129, v45, v49, v129
	v_dot2_f32_f16 v130, v45, v50, v130
	v_dot2_f32_f16 v167, v46, v47, v167
	v_dot2_f32_f16 v168, v46, v48, v168
	v_dot2_f32_f16 v169, v46, v49, v169
	v_dot2_f32_f16 v170, v46, v50, v170
	v_dot2_f32_f16 v171, v43, v39, v171
	v_dot2_f32_f16 v172, v43, v40, v172
	;; [unrolled: 1-line block ×16, first 2 shown]
	ds_load_b128 v[107:110], v18 offset:14080
	ds_load_b128 v[115:118], v18 offset:14336
	;; [unrolled: 1-line block ×4, first 2 shown]
	s_wait_dscnt 0x11
	v_dot2_f32_f16 v131, v51, v63, v131
	v_dot2_f32_f16 v132, v51, v64, v132
	v_dot2_f32_f16 v133, v51, v65, v133
	v_dot2_f32_f16 v134, v51, v66, v134
	v_dot2_f32_f16 v135, v52, v63, v135
	v_dot2_f32_f16 v136, v52, v64, v136
	v_dot2_f32_f16 v137, v52, v65, v137
	v_dot2_f32_f16 v138, v52, v66, v138
	v_dot2_f32_f16 v139, v53, v63, v139
	v_dot2_f32_f16 v140, v53, v64, v140
	v_dot2_f32_f16 v141, v53, v65, v141
	v_dot2_f32_f16 v142, v53, v66, v142
	v_dot2_f32_f16 v143, v54, v63, v143
	v_dot2_f32_f16 v144, v54, v64, v144
	v_dot2_f32_f16 v145, v54, v65, v145
	v_dot2_f32_f16 v146, v54, v66, v146
	s_wait_dscnt 0x10
	v_dot2_f32_f16 v147, v51, v55, v147
	v_dot2_f32_f16 v148, v51, v56, v148
	v_dot2_f32_f16 v149, v51, v57, v149
	v_dot2_f32_f16 v150, v51, v58, v150
	v_dot2_f32_f16 v151, v52, v55, v151
	v_dot2_f32_f16 v152, v52, v56, v152
	v_dot2_f32_f16 v153, v52, v57, v153
	v_dot2_f32_f16 v154, v52, v58, v154
	v_dot2_f32_f16 v155, v53, v55, v155
	v_dot2_f32_f16 v156, v53, v56, v156
	v_dot2_f32_f16 v157, v53, v57, v157
	v_dot2_f32_f16 v158, v53, v58, v158
	v_dot2_f32_f16 v159, v54, v55, v159
	v_dot2_f32_f16 v160, v54, v56, v160
	v_dot2_f32_f16 v161, v54, v57, v161
	v_dot2_f32_f16 v162, v54, v58, v162
	;; [unrolled: 17-line block ×3, first 2 shown]
	v_dot2_f32_f16 v171, v59, v55, v171
	v_dot2_f32_f16 v172, v59, v56, v172
	;; [unrolled: 1-line block ×16, first 2 shown]
	ds_load_b128 v[23:26], v18 offset:14592
	ds_load_b128 v[27:30], v18 offset:14848
	;; [unrolled: 1-line block ×4, first 2 shown]
	s_wait_dscnt 0x11
	v_dot2_f32_f16 v191, v67, v79, v131
	v_dot2_f32_f16 v192, v67, v80, v132
	v_dot2_f32_f16 v193, v67, v81, v133
	v_dot2_f32_f16 v194, v67, v82, v134
	v_dot2_f32_f16 v135, v68, v79, v135
	v_dot2_f32_f16 v136, v68, v80, v136
	v_dot2_f32_f16 v137, v68, v81, v137
	v_dot2_f32_f16 v138, v68, v82, v138
	v_dot2_f32_f16 v139, v69, v79, v139
	v_dot2_f32_f16 v140, v69, v80, v140
	v_dot2_f32_f16 v141, v69, v81, v141
	v_dot2_f32_f16 v142, v69, v82, v142
	v_dot2_f32_f16 v143, v70, v79, v143
	v_dot2_f32_f16 v144, v70, v80, v144
	v_dot2_f32_f16 v145, v70, v81, v145
	v_dot2_f32_f16 v146, v70, v82, v146
	s_wait_dscnt 0x10
	v_dot2_f32_f16 v147, v67, v71, v147
	v_dot2_f32_f16 v148, v67, v72, v148
	v_dot2_f32_f16 v149, v67, v73, v149
	v_dot2_f32_f16 v67, v67, v74, v150
	v_dot2_f32_f16 v150, v68, v71, v151
	v_dot2_f32_f16 v151, v68, v72, v152
	v_dot2_f32_f16 v152, v68, v73, v153
	v_dot2_f32_f16 v68, v68, v74, v154
	v_dot2_f32_f16 v153, v69, v71, v155
	v_dot2_f32_f16 v154, v69, v72, v156
	v_dot2_f32_f16 v155, v69, v73, v157
	v_dot2_f32_f16 v69, v69, v74, v158
	v_dot2_f32_f16 v156, v70, v71, v159
	v_dot2_f32_f16 v157, v70, v72, v160
	v_dot2_f32_f16 v158, v70, v73, v161
	v_dot2_f32_f16 v70, v70, v74, v162
	;; [unrolled: 17-line block ×3, first 2 shown]
	v_dot2_f32_f16 v167, v75, v71, v171
	v_dot2_f32_f16 v168, v75, v72, v172
	;; [unrolled: 1-line block ×16, first 2 shown]
	ds_load_b128 v[39:42], v18 offset:15104
	ds_load_b128 v[43:46], v18 offset:15360
	;; [unrolled: 1-line block ×4, first 2 shown]
	s_wait_dscnt 0x11
	v_dot2_f32_f16 v78, v83, v95, v191
	v_dot2_f32_f16 v176, v83, v96, v192
	v_dot2_f32_f16 v177, v83, v97, v193
	v_dot2_f32_f16 v178, v83, v98, v194
	v_dot2_f32_f16 v135, v84, v95, v135
	v_dot2_f32_f16 v136, v84, v96, v136
	v_dot2_f32_f16 v137, v84, v97, v137
	v_dot2_f32_f16 v138, v84, v98, v138
	v_dot2_f32_f16 v139, v85, v95, v139
	v_dot2_f32_f16 v140, v85, v96, v140
	v_dot2_f32_f16 v141, v85, v97, v141
	v_dot2_f32_f16 v142, v85, v98, v142
	v_dot2_f32_f16 v143, v86, v95, v143
	v_dot2_f32_f16 v144, v86, v96, v144
	v_dot2_f32_f16 v145, v86, v97, v145
	v_dot2_f32_f16 v146, v86, v98, v146
	s_wait_dscnt 0x10
	v_dot2_f32_f16 v147, v83, v87, v147
	v_dot2_f32_f16 v148, v83, v88, v148
	v_dot2_f32_f16 v149, v83, v89, v149
	v_dot2_f32_f16 v67, v83, v90, v67
	v_dot2_f32_f16 v83, v84, v87, v150
	v_dot2_f32_f16 v150, v84, v88, v151
	v_dot2_f32_f16 v151, v84, v89, v152
	v_dot2_f32_f16 v68, v84, v90, v68
	v_dot2_f32_f16 v84, v85, v87, v153
	v_dot2_f32_f16 v152, v85, v88, v154
	v_dot2_f32_f16 v153, v85, v89, v155
	v_dot2_f32_f16 v69, v85, v90, v69
	v_dot2_f32_f16 v85, v86, v87, v156
	v_dot2_f32_f16 v154, v86, v88, v157
	v_dot2_f32_f16 v155, v86, v89, v158
	v_dot2_f32_f16 v70, v86, v90, v70
	s_wait_dscnt 0xf
	v_dot2_f32_f16 v86, v91, v95, v159
	v_dot2_f32_f16 v156, v91, v96, v160
	v_dot2_f32_f16 v157, v91, v97, v161
	v_dot2_f32_f16 v158, v91, v98, v162
	v_dot2_f32_f16 v159, v92, v95, v163
	v_dot2_f32_f16 v160, v92, v96, v164
	v_dot2_f32_f16 v161, v92, v97, v165
	v_dot2_f32_f16 v162, v92, v98, v166
	v_dot2_f32_f16 v163, v93, v95, v187
	v_dot2_f32_f16 v164, v93, v96, v188
	v_dot2_f32_f16 v165, v93, v97, v189
	v_dot2_f32_f16 v166, v93, v98, v190
	v_dot2_f32_f16 v79, v94, v95, v79
	v_dot2_f32_f16 v80, v94, v96, v80
	v_dot2_f32_f16 v81, v94, v97, v81
	v_dot2_f32_f16 v82, v94, v98, v82
	v_dot2_f32_f16 v95, v91, v87, v167
	v_dot2_f32_f16 v96, v91, v88, v168
	;; [unrolled: 1-line block ×16, first 2 shown]
	ds_load_b128 v[55:58], v18 offset:15616
	ds_load_b128 v[59:62], v18 offset:15872
	;; [unrolled: 1-line block ×5, first 2 shown]
	s_wait_dscnt 0x12
	v_dot2_f32_f16 v78, v99, v111, v78
	v_dot2_f32_f16 v87, v99, v112, v176
	v_dot2_f32_f16 v88, v99, v113, v177
	v_dot2_f32_f16 v89, v99, v114, v178
	v_dot2_f32_f16 v90, v100, v111, v135
	v_dot2_f32_f16 v93, v100, v112, v136
	v_dot2_f32_f16 v94, v100, v113, v137
	v_dot2_f32_f16 v135, v100, v114, v138
	v_dot2_f32_f16 v136, v101, v111, v139
	v_dot2_f32_f16 v137, v101, v112, v140
	v_dot2_f32_f16 v138, v101, v113, v141
	v_dot2_f32_f16 v139, v101, v114, v142
	v_dot2_f32_f16 v140, v102, v111, v143
	v_dot2_f32_f16 v141, v102, v112, v144
	v_dot2_f32_f16 v142, v102, v113, v145
	v_dot2_f32_f16 v143, v102, v114, v146
	s_wait_dscnt 0x11
	v_dot2_f32_f16 v144, v99, v103, v147
	v_dot2_f32_f16 v145, v99, v104, v148
	v_dot2_f32_f16 v146, v99, v105, v149
	v_dot2_f32_f16 v67, v99, v106, v67
	v_dot2_f32_f16 v83, v100, v103, v83
	v_dot2_f32_f16 v99, v100, v104, v150
	v_dot2_f32_f16 v147, v100, v105, v151
	v_dot2_f32_f16 v68, v100, v106, v68
	v_dot2_f32_f16 v84, v101, v103, v84
	v_dot2_f32_f16 v100, v101, v104, v152
	v_dot2_f32_f16 v148, v101, v105, v153
	v_dot2_f32_f16 v69, v101, v106, v69
	v_dot2_f32_f16 v85, v102, v103, v85
	v_dot2_f32_f16 v101, v102, v104, v154
	v_dot2_f32_f16 v149, v102, v105, v155
	v_dot2_f32_f16 v70, v102, v106, v70
	;; [unrolled: 17-line block ×3, first 2 shown]
	v_dot2_f32_f16 v95, v107, v103, v95
	v_dot2_f32_f16 v96, v107, v104, v96
	v_dot2_f32_f16 v97, v107, v105, v97
	v_dot2_f32_f16 v75, v107, v106, v75
	v_dot2_f32_f16 v91, v108, v103, v91
	v_dot2_f32_f16 v98, v108, v104, v98
	v_dot2_f32_f16 v107, v108, v105, v167
	v_dot2_f32_f16 v76, v108, v106, v76
	v_dot2_f32_f16 v92, v109, v103, v92
	v_dot2_f32_f16 v108, v109, v104, v168
	v_dot2_f32_f16 v111, v109, v105, v169
	v_dot2_f32_f16 v77, v109, v106, v77
	v_dot2_f32_f16 v71, v110, v103, v71
	v_dot2_f32_f16 v72, v110, v104, v72
	v_dot2_f32_f16 v73, v110, v105, v73
	v_dot2_f32_f16 v74, v110, v106, v74
	s_wait_dscnt 0xe
	v_dot2_f32_f16 v78, v115, v119, v78
	v_dot2_f32_f16 v87, v115, v120, v87
	v_dot2_f32_f16 v88, v115, v121, v88
	v_dot2_f32_f16 v89, v115, v122, v89
	v_dot2_f32_f16 v90, v116, v119, v90
	v_dot2_f32_f16 v93, v116, v120, v93
	v_dot2_f32_f16 v94, v116, v121, v94
	v_dot2_f32_f16 v103, v116, v122, v135
	v_dot2_f32_f16 v104, v117, v119, v136
	v_dot2_f32_f16 v105, v117, v120, v137
	v_dot2_f32_f16 v106, v117, v121, v138
	v_dot2_f32_f16 v109, v117, v122, v139
	v_dot2_f32_f16 v110, v118, v119, v140
	v_dot2_f32_f16 v112, v118, v120, v141
	v_dot2_f32_f16 v113, v118, v121, v142
	v_dot2_f32_f16 v114, v118, v122, v143
	s_wait_dscnt 0xd
	;; [unrolled: 17-line block ×3, first 2 shown]
	v_dot2_f32_f16 v86, v23, v119, v86
	v_dot2_f32_f16 v102, v23, v120, v102
	;; [unrolled: 1-line block ×32, first 2 shown]
	s_wait_dscnt 0xa
	v_dot2_f32_f16 v34, v27, v35, v78
	v_dot2_f32_f16 v71, v27, v36, v87
	v_dot2_f32_f16 v72, v27, v37, v88
	v_dot2_f32_f16 v73, v27, v38, v89
	v_dot2_f32_f16 v74, v28, v35, v90
	v_dot2_f32_f16 v77, v28, v36, v93
	v_dot2_f32_f16 v78, v28, v37, v94
	v_dot2_f32_f16 v87, v28, v38, v103
	v_dot2_f32_f16 v88, v29, v35, v104
	v_dot2_f32_f16 v89, v29, v36, v105
	v_dot2_f32_f16 v90, v29, v37, v106
	v_dot2_f32_f16 v93, v29, v38, v109
	v_dot2_f32_f16 v94, v30, v35, v110
	v_dot2_f32_f16 v103, v30, v36, v112
	v_dot2_f32_f16 v104, v30, v37, v113
	v_dot2_f32_f16 v105, v30, v38, v114
	s_wait_dscnt 0x9
	v_dot2_f32_f16 v106, v27, v47, v135
	v_dot2_f32_f16 v108, v27, v48, v136
	v_dot2_f32_f16 v109, v27, v49, v137
	v_dot2_f32_f16 v27, v27, v50, v67
	v_dot2_f32_f16 v67, v28, v47, v83
	v_dot2_f32_f16 v83, v28, v48, v99
	v_dot2_f32_f16 v99, v28, v49, v115
	v_dot2_f32_f16 v28, v28, v50, v68
	v_dot2_f32_f16 v68, v29, v47, v84
	v_dot2_f32_f16 v84, v29, v48, v100
	v_dot2_f32_f16 v100, v29, v49, v116
	v_dot2_f32_f16 v29, v29, v50, v69
	v_dot2_f32_f16 v69, v30, v47, v85
	v_dot2_f32_f16 v85, v30, v48, v101
	v_dot2_f32_f16 v101, v30, v49, v117
	v_dot2_f32_f16 v30, v30, v50, v70
	;; [unrolled: 17-line block ×3, first 2 shown]
	v_dot2_f32_f16 v79, v39, v47, v95
	v_dot2_f32_f16 v80, v39, v48, v96
	v_dot2_f32_f16 v81, v39, v49, v97
	v_dot2_f32_f16 v23, v39, v50, v23
	v_dot2_f32_f16 v39, v40, v47, v75
	v_dot2_f32_f16 v75, v40, v48, v91
	v_dot2_f32_f16 v82, v40, v49, v98
	v_dot2_f32_f16 v24, v40, v50, v24
	v_dot2_f32_f16 v40, v41, v47, v76
	v_dot2_f32_f16 v76, v41, v48, v92
	v_dot2_f32_f16 v91, v41, v49, v107
	v_dot2_f32_f16 v25, v41, v50, v25
	v_dot2_f32_f16 v31, v42, v47, v31
	v_dot2_f32_f16 v32, v42, v48, v32
	v_dot2_f32_f16 v33, v42, v49, v33
	v_dot2_f32_f16 v26, v42, v50, v26
	s_wait_dscnt 0x6
	v_dot2_f32_f16 v34, v43, v51, v34
	v_dot2_f32_f16 v41, v43, v52, v71
	v_dot2_f32_f16 v42, v43, v53, v72
	v_dot2_f32_f16 v47, v43, v54, v73
	v_dot2_f32_f16 v48, v44, v51, v74
	v_dot2_f32_f16 v49, v44, v52, v77
	v_dot2_f32_f16 v50, v44, v53, v78
	v_dot2_f32_f16 v71, v44, v54, v87
	v_dot2_f32_f16 v72, v45, v51, v88
	v_dot2_f32_f16 v73, v45, v52, v89
	v_dot2_f32_f16 v74, v45, v53, v90
	v_dot2_f32_f16 v77, v45, v54, v93
	v_dot2_f32_f16 v78, v46, v51, v94
	v_dot2_f32_f16 v87, v46, v52, v103
	v_dot2_f32_f16 v88, v46, v53, v104
	v_dot2_f32_f16 v89, v46, v54, v105
	s_wait_dscnt 0x5
	;; [unrolled: 17-line block ×3, first 2 shown]
	v_dot2_f32_f16 v46, v55, v51, v70
	v_dot2_f32_f16 v70, v55, v52, v86
	;; [unrolled: 1-line block ×32, first 2 shown]
	s_wait_dscnt 0x2
	v_dot2_f32_f16 v86, v59, v123, v34
	v_dot2_f32_f16 v85, v59, v124, v41
	;; [unrolled: 1-line block ×16, first 2 shown]
	s_wait_dscnt 0x0
	v_dot2_f32_f16 v78, v59, v127, v90
	v_dot2_f32_f16 v77, v59, v128, v92
	;; [unrolled: 1-line block ×48, first 2 shown]
	s_add_co_i32 s15, s15, 32
	s_add_co_i32 s14, s14, s17
	;; [unrolled: 1-line block ×17, first 2 shown]
	s_wait_alu 0xfffe
	s_cmp_lt_i32 s15, s16
	ds_store_b128 v20, v[0:3]
	ds_store_b128 v20, v[4:7] offset:512
	ds_store_b128 v20, v[8:11] offset:16384
	;; [unrolled: 1-line block ×3, first 2 shown]
	s_cbranch_scc1 .LBB2_1
; %bb.2:
	s_wait_dscnt 0x0
	s_barrier_signal -1
	s_barrier_wait -1
	global_inv scope:SCOPE_SE
	ds_load_b128 v[0:3], v18
	ds_load_b128 v[4:7], v19 offset:16384
	ds_load_b128 v[8:11], v19 offset:16640
	;; [unrolled: 1-line block ×3, first 2 shown]
	s_lshl_b32 s6, s6, 1
	s_and_b32 s5, s5, 0xffff
	s_wait_dscnt 0x2
	v_dot2_f32_f16 v20, v0, v4, v86
	v_dot2_f32_f16 v21, v0, v5, v85
	;; [unrolled: 1-line block ×16, first 2 shown]
	s_wait_dscnt 0x1
	v_dot2_f32_f16 v78, v0, v8, v78
	v_dot2_f32_f16 v77, v0, v9, v77
	;; [unrolled: 1-line block ×16, first 2 shown]
	ds_load_b128 v[0:3], v18 offset:512
	s_wait_dscnt 0x1
	v_dot2_f32_f16 v35, v12, v4, v35
	v_dot2_f32_f16 v34, v12, v5, v34
	;; [unrolled: 1-line block ×15, first 2 shown]
	ds_load_b128 v[28:31], v19 offset:16896
	v_dot2_f32_f16 v68, v15, v7, v68
	v_dot2_f32_f16 v27, v12, v8, v27
	;; [unrolled: 1-line block ×15, first 2 shown]
	ds_load_b128 v[4:7], v19 offset:17152
	v_dot2_f32_f16 v50, v15, v10, v50
	v_dot2_f32_f16 v51, v15, v11, v51
	ds_load_b128 v[8:11], v18 offset:768
	s_wait_dscnt 0x2
	v_dot2_f32_f16 v88, v0, v28, v20
	v_dot2_f32_f16 v89, v0, v29, v21
	;; [unrolled: 1-line block ×16, first 2 shown]
	s_wait_dscnt 0x1
	v_dot2_f32_f16 v78, v0, v4, v78
	v_dot2_f32_f16 v77, v0, v5, v77
	v_dot2_f32_f16 v76, v0, v6, v76
	v_dot2_f32_f16 v74, v0, v7, v74
	v_dot2_f32_f16 v69, v1, v4, v69
	v_dot2_f32_f16 v65, v1, v5, v65
	v_dot2_f32_f16 v64, v1, v6, v64
	v_dot2_f32_f16 v58, v1, v7, v58
	v_dot2_f32_f16 v54, v2, v4, v54
	v_dot2_f32_f16 v52, v2, v5, v52
	v_dot2_f32_f16 v48, v2, v6, v48
	v_dot2_f32_f16 v47, v2, v7, v47
	v_dot2_f32_f16 v42, v3, v4, v42
	v_dot2_f32_f16 v38, v3, v5, v38
	v_dot2_f32_f16 v37, v3, v6, v37
	v_dot2_f32_f16 v36, v3, v7, v36
	ds_load_b128 v[0:3], v18 offset:1024
	s_wait_dscnt 0x1
	v_dot2_f32_f16 v35, v8, v28, v35
	v_dot2_f32_f16 v84, v9, v28, v84
	;; [unrolled: 1-line block ×4, first 2 shown]
	ds_load_b128 v[12:15], v19 offset:17408
	v_dot2_f32_f16 v27, v8, v4, v27
	v_dot2_f32_f16 v26, v8, v5, v26
	v_dot2_f32_f16 v25, v8, v6, v25
	v_dot2_f32_f16 v24, v8, v7, v24
	v_dot2_f32_f16 v66, v9, v4, v23
	v_dot2_f32_f16 v39, v9, v5, v39
	v_dot2_f32_f16 v40, v9, v6, v40
	v_dot2_f32_f16 v41, v9, v7, v41
	v_dot2_f32_f16 v43, v10, v4, v43
	v_dot2_f32_f16 v44, v10, v5, v44
	v_dot2_f32_f16 v45, v10, v6, v45
	v_dot2_f32_f16 v46, v10, v7, v46
	v_dot2_f32_f16 v49, v11, v4, v49
	v_dot2_f32_f16 v53, v11, v5, v53
	ds_load_b128 v[20:23], v19 offset:17664
	v_dot2_f32_f16 v50, v11, v6, v50
	v_dot2_f32_f16 v51, v11, v7, v51
	ds_load_b128 v[4:7], v18 offset:1280
	v_dot2_f32_f16 v34, v8, v29, v34
	v_dot2_f32_f16 v33, v8, v30, v33
	;; [unrolled: 1-line block ×12, first 2 shown]
	s_wait_dscnt 0x2
	v_dot2_f32_f16 v67, v0, v12, v88
	v_dot2_f32_f16 v68, v0, v13, v89
	;; [unrolled: 1-line block ×16, first 2 shown]
	s_wait_dscnt 0x1
	v_dot2_f32_f16 v78, v0, v20, v78
	v_dot2_f32_f16 v77, v0, v21, v77
	;; [unrolled: 1-line block ×16, first 2 shown]
	ds_load_b128 v[0:3], v18 offset:1536
	s_wait_dscnt 0x1
	v_dot2_f32_f16 v35, v4, v12, v35
	v_dot2_f32_f16 v34, v4, v13, v34
	;; [unrolled: 1-line block ×15, first 2 shown]
	ds_load_b128 v[8:11], v19 offset:17920
	v_dot2_f32_f16 v31, v7, v15, v31
	v_dot2_f32_f16 v27, v4, v20, v27
	;; [unrolled: 1-line block ×15, first 2 shown]
	ds_load_b128 v[12:15], v19 offset:18176
	v_dot2_f32_f16 v50, v7, v22, v50
	v_dot2_f32_f16 v51, v7, v23, v51
	ds_load_b128 v[4:7], v18 offset:1792
	s_wait_dscnt 0x2
	v_dot2_f32_f16 v67, v0, v8, v67
	v_dot2_f32_f16 v68, v0, v9, v68
	;; [unrolled: 1-line block ×16, first 2 shown]
	s_wait_dscnt 0x1
	v_dot2_f32_f16 v78, v0, v12, v78
	v_dot2_f32_f16 v77, v0, v13, v77
	;; [unrolled: 1-line block ×16, first 2 shown]
	ds_load_b128 v[0:3], v18 offset:2048
	s_wait_dscnt 0x1
	v_dot2_f32_f16 v35, v4, v8, v35
	v_dot2_f32_f16 v34, v4, v9, v34
	v_dot2_f32_f16 v33, v4, v10, v33
	v_dot2_f32_f16 v32, v4, v11, v32
	v_dot2_f32_f16 v84, v5, v8, v84
	v_dot2_f32_f16 v85, v5, v9, v85
	v_dot2_f32_f16 v86, v5, v10, v86
	v_dot2_f32_f16 v87, v5, v11, v87
	v_dot2_f32_f16 v59, v6, v8, v59
	v_dot2_f32_f16 v60, v6, v9, v60
	v_dot2_f32_f16 v61, v6, v10, v61
	v_dot2_f32_f16 v62, v6, v11, v62
	v_dot2_f32_f16 v28, v7, v8, v28
	v_dot2_f32_f16 v29, v7, v9, v29
	v_dot2_f32_f16 v30, v7, v10, v30
	ds_load_b128 v[20:23], v19 offset:18432
	v_dot2_f32_f16 v31, v7, v11, v31
	v_dot2_f32_f16 v27, v4, v12, v27
	;; [unrolled: 1-line block ×15, first 2 shown]
	ds_load_b128 v[8:11], v19 offset:18688
	v_dot2_f32_f16 v50, v7, v14, v50
	v_dot2_f32_f16 v51, v7, v15, v51
	ds_load_b128 v[4:7], v18 offset:2304
	s_wait_dscnt 0x2
	v_dot2_f32_f16 v67, v0, v20, v67
	v_dot2_f32_f16 v68, v0, v21, v68
	;; [unrolled: 1-line block ×16, first 2 shown]
	s_wait_dscnt 0x1
	v_dot2_f32_f16 v78, v0, v8, v78
	v_dot2_f32_f16 v77, v0, v9, v77
	;; [unrolled: 1-line block ×16, first 2 shown]
	ds_load_b128 v[0:3], v18 offset:2560
	s_wait_dscnt 0x1
	v_dot2_f32_f16 v35, v4, v20, v35
	v_dot2_f32_f16 v34, v4, v21, v34
	;; [unrolled: 1-line block ×15, first 2 shown]
	ds_load_b128 v[12:15], v19 offset:18944
	v_dot2_f32_f16 v31, v7, v23, v31
	v_dot2_f32_f16 v27, v4, v8, v27
	;; [unrolled: 1-line block ×15, first 2 shown]
	ds_load_b128 v[20:23], v19 offset:19200
	v_dot2_f32_f16 v50, v7, v10, v50
	v_dot2_f32_f16 v51, v7, v11, v51
	ds_load_b128 v[4:7], v18 offset:2816
	s_wait_dscnt 0x2
	v_dot2_f32_f16 v67, v0, v12, v67
	v_dot2_f32_f16 v68, v0, v13, v68
	;; [unrolled: 1-line block ×16, first 2 shown]
	s_wait_dscnt 0x1
	v_dot2_f32_f16 v78, v0, v20, v78
	v_dot2_f32_f16 v77, v0, v21, v77
	;; [unrolled: 1-line block ×16, first 2 shown]
	ds_load_b128 v[0:3], v18 offset:3072
	s_wait_dscnt 0x1
	v_dot2_f32_f16 v35, v4, v12, v35
	v_dot2_f32_f16 v34, v4, v13, v34
	;; [unrolled: 1-line block ×15, first 2 shown]
	ds_load_b128 v[8:11], v19 offset:19456
	v_dot2_f32_f16 v31, v7, v15, v31
	v_dot2_f32_f16 v27, v4, v20, v27
	;; [unrolled: 1-line block ×15, first 2 shown]
	ds_load_b128 v[12:15], v19 offset:19712
	v_dot2_f32_f16 v50, v7, v22, v50
	v_dot2_f32_f16 v51, v7, v23, v51
	ds_load_b128 v[4:7], v18 offset:3328
	s_wait_dscnt 0x2
	v_dot2_f32_f16 v67, v0, v8, v67
	v_dot2_f32_f16 v68, v0, v9, v68
	;; [unrolled: 1-line block ×16, first 2 shown]
	s_wait_dscnt 0x1
	v_dot2_f32_f16 v78, v0, v12, v78
	v_dot2_f32_f16 v77, v0, v13, v77
	;; [unrolled: 1-line block ×16, first 2 shown]
	ds_load_b128 v[0:3], v18 offset:3584
	s_wait_dscnt 0x1
	v_dot2_f32_f16 v35, v4, v8, v35
	v_dot2_f32_f16 v34, v4, v9, v34
	;; [unrolled: 1-line block ×15, first 2 shown]
	ds_load_b128 v[20:23], v19 offset:19968
	v_dot2_f32_f16 v31, v7, v11, v31
	v_dot2_f32_f16 v27, v4, v12, v27
	;; [unrolled: 1-line block ×15, first 2 shown]
	ds_load_b128 v[8:11], v19 offset:20224
	v_dot2_f32_f16 v50, v7, v14, v50
	v_dot2_f32_f16 v51, v7, v15, v51
	ds_load_b128 v[4:7], v18 offset:3840
	s_wait_dscnt 0x2
	v_dot2_f32_f16 v67, v0, v20, v67
	v_dot2_f32_f16 v68, v0, v21, v68
	;; [unrolled: 1-line block ×16, first 2 shown]
	s_wait_dscnt 0x1
	v_dot2_f32_f16 v78, v0, v8, v78
	v_dot2_f32_f16 v77, v0, v9, v77
	;; [unrolled: 1-line block ×16, first 2 shown]
	ds_load_b128 v[0:3], v18 offset:4096
	s_wait_dscnt 0x1
	v_dot2_f32_f16 v35, v4, v20, v35
	v_dot2_f32_f16 v34, v4, v21, v34
	;; [unrolled: 1-line block ×15, first 2 shown]
	ds_load_b128 v[12:15], v19 offset:20480
	v_dot2_f32_f16 v31, v7, v23, v31
	v_dot2_f32_f16 v27, v4, v8, v27
	;; [unrolled: 1-line block ×15, first 2 shown]
	ds_load_b128 v[20:23], v19 offset:20736
	v_dot2_f32_f16 v50, v7, v10, v50
	v_dot2_f32_f16 v51, v7, v11, v51
	ds_load_b128 v[4:7], v18 offset:4352
	s_wait_dscnt 0x2
	v_dot2_f32_f16 v67, v0, v12, v67
	v_dot2_f32_f16 v68, v0, v13, v68
	;; [unrolled: 1-line block ×16, first 2 shown]
	s_wait_dscnt 0x1
	v_dot2_f32_f16 v78, v0, v20, v78
	v_dot2_f32_f16 v77, v0, v21, v77
	;; [unrolled: 1-line block ×16, first 2 shown]
	ds_load_b128 v[0:3], v18 offset:4608
	s_wait_dscnt 0x1
	v_dot2_f32_f16 v35, v4, v12, v35
	v_dot2_f32_f16 v34, v4, v13, v34
	;; [unrolled: 1-line block ×15, first 2 shown]
	ds_load_b128 v[8:11], v19 offset:20992
	v_dot2_f32_f16 v31, v7, v15, v31
	v_dot2_f32_f16 v27, v4, v20, v27
	;; [unrolled: 1-line block ×15, first 2 shown]
	ds_load_b128 v[12:15], v19 offset:21248
	v_dot2_f32_f16 v50, v7, v22, v50
	v_dot2_f32_f16 v51, v7, v23, v51
	ds_load_b128 v[4:7], v18 offset:4864
	s_wait_dscnt 0x2
	v_dot2_f32_f16 v67, v0, v8, v67
	v_dot2_f32_f16 v68, v0, v9, v68
	;; [unrolled: 1-line block ×16, first 2 shown]
	s_wait_dscnt 0x1
	v_dot2_f32_f16 v78, v0, v12, v78
	v_dot2_f32_f16 v77, v0, v13, v77
	;; [unrolled: 1-line block ×16, first 2 shown]
	ds_load_b128 v[0:3], v18 offset:5120
	s_wait_dscnt 0x1
	v_dot2_f32_f16 v35, v4, v8, v35
	v_dot2_f32_f16 v34, v4, v9, v34
	;; [unrolled: 1-line block ×15, first 2 shown]
	ds_load_b128 v[20:23], v19 offset:21504
	v_dot2_f32_f16 v31, v7, v11, v31
	v_dot2_f32_f16 v27, v4, v12, v27
	;; [unrolled: 1-line block ×15, first 2 shown]
	ds_load_b128 v[8:11], v19 offset:21760
	v_dot2_f32_f16 v50, v7, v14, v50
	v_dot2_f32_f16 v51, v7, v15, v51
	ds_load_b128 v[4:7], v18 offset:5376
	s_wait_dscnt 0x2
	v_dot2_f32_f16 v67, v0, v20, v67
	v_dot2_f32_f16 v68, v0, v21, v68
	;; [unrolled: 1-line block ×16, first 2 shown]
	s_wait_dscnt 0x1
	v_dot2_f32_f16 v78, v0, v8, v78
	v_dot2_f32_f16 v77, v0, v9, v77
	;; [unrolled: 1-line block ×16, first 2 shown]
	ds_load_b128 v[0:3], v18 offset:5632
	s_wait_dscnt 0x1
	v_dot2_f32_f16 v35, v4, v20, v35
	v_dot2_f32_f16 v34, v4, v21, v34
	;; [unrolled: 1-line block ×15, first 2 shown]
	ds_load_b128 v[12:15], v19 offset:22016
	v_dot2_f32_f16 v31, v7, v23, v31
	v_dot2_f32_f16 v27, v4, v8, v27
	;; [unrolled: 1-line block ×15, first 2 shown]
	ds_load_b128 v[20:23], v19 offset:22272
	v_dot2_f32_f16 v50, v7, v10, v50
	v_dot2_f32_f16 v51, v7, v11, v51
	ds_load_b128 v[4:7], v18 offset:5888
	s_wait_dscnt 0x2
	v_dot2_f32_f16 v67, v0, v12, v67
	v_dot2_f32_f16 v68, v0, v13, v68
	v_dot2_f32_f16 v70, v0, v14, v70
	v_dot2_f32_f16 v83, v0, v15, v83
	v_dot2_f32_f16 v82, v1, v12, v82
	v_dot2_f32_f16 v81, v1, v13, v81
	v_dot2_f32_f16 v80, v1, v14, v80
	v_dot2_f32_f16 v79, v1, v15, v79
	v_dot2_f32_f16 v75, v2, v12, v75
	v_dot2_f32_f16 v73, v2, v13, v73
	v_dot2_f32_f16 v72, v2, v14, v72
	v_dot2_f32_f16 v71, v2, v15, v71
	v_dot2_f32_f16 v63, v3, v12, v63
	v_dot2_f32_f16 v57, v3, v13, v57
	v_dot2_f32_f16 v56, v3, v14, v56
	v_dot2_f32_f16 v55, v3, v15, v55
	s_wait_dscnt 0x1
	v_dot2_f32_f16 v78, v0, v20, v78
	v_dot2_f32_f16 v77, v0, v21, v77
	;; [unrolled: 1-line block ×16, first 2 shown]
	ds_load_b128 v[0:3], v18 offset:6144
	s_wait_dscnt 0x1
	v_dot2_f32_f16 v35, v4, v12, v35
	v_dot2_f32_f16 v34, v4, v13, v34
	v_dot2_f32_f16 v33, v4, v14, v33
	v_dot2_f32_f16 v32, v4, v15, v32
	v_dot2_f32_f16 v84, v5, v12, v84
	v_dot2_f32_f16 v85, v5, v13, v85
	v_dot2_f32_f16 v86, v5, v14, v86
	v_dot2_f32_f16 v87, v5, v15, v87
	v_dot2_f32_f16 v59, v6, v12, v59
	v_dot2_f32_f16 v60, v6, v13, v60
	v_dot2_f32_f16 v61, v6, v14, v61
	v_dot2_f32_f16 v62, v6, v15, v62
	v_dot2_f32_f16 v28, v7, v12, v28
	v_dot2_f32_f16 v29, v7, v13, v29
	v_dot2_f32_f16 v30, v7, v14, v30
	ds_load_b128 v[8:11], v19 offset:22528
	v_dot2_f32_f16 v31, v7, v15, v31
	v_dot2_f32_f16 v27, v4, v20, v27
	v_dot2_f32_f16 v26, v4, v21, v26
	v_dot2_f32_f16 v25, v4, v22, v25
	v_dot2_f32_f16 v24, v4, v23, v24
	v_dot2_f32_f16 v66, v5, v20, v66
	v_dot2_f32_f16 v39, v5, v21, v39
	v_dot2_f32_f16 v40, v5, v22, v40
	v_dot2_f32_f16 v41, v5, v23, v41
	v_dot2_f32_f16 v43, v6, v20, v43
	v_dot2_f32_f16 v44, v6, v21, v44
	v_dot2_f32_f16 v45, v6, v22, v45
	v_dot2_f32_f16 v46, v6, v23, v46
	v_dot2_f32_f16 v49, v7, v20, v49
	v_dot2_f32_f16 v53, v7, v21, v53
	ds_load_b128 v[12:15], v19 offset:22784
	v_dot2_f32_f16 v50, v7, v22, v50
	v_dot2_f32_f16 v51, v7, v23, v51
	ds_load_b128 v[4:7], v18 offset:6400
	s_wait_dscnt 0x2
	v_dot2_f32_f16 v67, v0, v8, v67
	v_dot2_f32_f16 v68, v0, v9, v68
	;; [unrolled: 1-line block ×16, first 2 shown]
	s_wait_dscnt 0x1
	v_dot2_f32_f16 v78, v0, v12, v78
	v_dot2_f32_f16 v77, v0, v13, v77
	;; [unrolled: 1-line block ×16, first 2 shown]
	ds_load_b128 v[0:3], v18 offset:6656
	s_wait_dscnt 0x1
	v_dot2_f32_f16 v35, v4, v8, v35
	v_dot2_f32_f16 v34, v4, v9, v34
	;; [unrolled: 1-line block ×15, first 2 shown]
	ds_load_b128 v[20:23], v19 offset:23040
	v_dot2_f32_f16 v31, v7, v11, v31
	v_dot2_f32_f16 v27, v4, v12, v27
	;; [unrolled: 1-line block ×15, first 2 shown]
	ds_load_b128 v[8:11], v19 offset:23296
	v_dot2_f32_f16 v50, v7, v14, v50
	v_dot2_f32_f16 v51, v7, v15, v51
	ds_load_b128 v[4:7], v18 offset:6912
	s_wait_dscnt 0x2
	v_dot2_f32_f16 v67, v0, v20, v67
	v_dot2_f32_f16 v68, v0, v21, v68
	;; [unrolled: 1-line block ×16, first 2 shown]
	s_wait_dscnt 0x1
	v_dot2_f32_f16 v78, v0, v8, v78
	v_dot2_f32_f16 v77, v0, v9, v77
	v_dot2_f32_f16 v76, v0, v10, v76
	v_dot2_f32_f16 v74, v0, v11, v74
	v_dot2_f32_f16 v69, v1, v8, v69
	v_dot2_f32_f16 v65, v1, v9, v65
	v_dot2_f32_f16 v64, v1, v10, v64
	v_dot2_f32_f16 v58, v1, v11, v58
	v_dot2_f32_f16 v54, v2, v8, v54
	v_dot2_f32_f16 v52, v2, v9, v52
	v_dot2_f32_f16 v48, v2, v10, v48
	v_dot2_f32_f16 v47, v2, v11, v47
	v_dot2_f32_f16 v42, v3, v8, v42
	v_dot2_f32_f16 v38, v3, v9, v38
	v_dot2_f32_f16 v37, v3, v10, v37
	v_dot2_f32_f16 v36, v3, v11, v36
	ds_load_b128 v[0:3], v18 offset:7168
	s_wait_dscnt 0x1
	v_dot2_f32_f16 v35, v4, v20, v35
	v_dot2_f32_f16 v34, v4, v21, v34
	;; [unrolled: 1-line block ×15, first 2 shown]
	ds_load_b128 v[12:15], v19 offset:23552
	v_dot2_f32_f16 v31, v7, v23, v31
	v_dot2_f32_f16 v27, v4, v8, v27
	;; [unrolled: 1-line block ×15, first 2 shown]
	ds_load_b128 v[20:23], v19 offset:23808
	v_dot2_f32_f16 v50, v7, v10, v50
	v_dot2_f32_f16 v51, v7, v11, v51
	ds_load_b128 v[4:7], v18 offset:7424
	s_wait_dscnt 0x2
	v_dot2_f32_f16 v67, v0, v12, v67
	v_dot2_f32_f16 v68, v0, v13, v68
	v_dot2_f32_f16 v70, v0, v14, v70
	v_dot2_f32_f16 v83, v0, v15, v83
	v_dot2_f32_f16 v82, v1, v12, v82
	v_dot2_f32_f16 v81, v1, v13, v81
	v_dot2_f32_f16 v80, v1, v14, v80
	v_dot2_f32_f16 v79, v1, v15, v79
	v_dot2_f32_f16 v75, v2, v12, v75
	v_dot2_f32_f16 v73, v2, v13, v73
	v_dot2_f32_f16 v72, v2, v14, v72
	v_dot2_f32_f16 v71, v2, v15, v71
	v_dot2_f32_f16 v63, v3, v12, v63
	v_dot2_f32_f16 v57, v3, v13, v57
	v_dot2_f32_f16 v56, v3, v14, v56
	v_dot2_f32_f16 v55, v3, v15, v55
	s_wait_dscnt 0x1
	v_dot2_f32_f16 v78, v0, v20, v78
	v_dot2_f32_f16 v77, v0, v21, v77
	;; [unrolled: 1-line block ×16, first 2 shown]
	ds_load_b128 v[0:3], v18 offset:7680
	s_wait_dscnt 0x1
	v_dot2_f32_f16 v35, v4, v12, v35
	v_dot2_f32_f16 v34, v4, v13, v34
	;; [unrolled: 1-line block ×15, first 2 shown]
	ds_load_b128 v[8:11], v19 offset:24064
	v_dot2_f32_f16 v31, v7, v15, v31
	ds_load_b128 v[12:15], v19 offset:24320
	v_dot2_f32_f16 v27, v4, v20, v27
	v_dot2_f32_f16 v26, v4, v21, v26
	;; [unrolled: 1-line block ×16, first 2 shown]
	ds_load_b128 v[4:7], v18 offset:7936
	s_wait_dscnt 0x2
	v_dot2_f32_f16 v18, v0, v8, v67
	v_dot2_f32_f16 v23, v0, v9, v68
	;; [unrolled: 1-line block ×5, first 2 shown]
	s_wait_dscnt 0x1
	v_dot2_f32_f16 v75, v0, v12, v78
	v_dot2_f32_f16 v77, v0, v13, v77
	;; [unrolled: 1-line block ×4, first 2 shown]
	v_add_nc_u32_e32 v0, s13, v17
	v_dot2_f32_f16 v51, v1, v8, v82
	v_dot2_f32_f16 v53, v1, v9, v81
	;; [unrolled: 1-line block ×4, first 2 shown]
	v_mul_lo_u32 v0, v0, s19
	v_dot2_f32_f16 v73, v2, v9, v73
	v_dot2_f32_f16 v72, v2, v10, v72
	;; [unrolled: 1-line block ×19, first 2 shown]
	s_wait_dscnt 0x0
	v_dot2_f32_f16 v35, v4, v8, v35
	v_dot2_f32_f16 v34, v4, v9, v34
	;; [unrolled: 1-line block ×22, first 2 shown]
	v_cvt_f16_f32_e32 v2, v18
	v_cvt_f16_f32_e32 v1, v49
	;; [unrolled: 1-line block ×4, first 2 shown]
	v_add3_u32 v5, s7, v16, v0
	s_mov_b32 s7, 0x31004000
	v_dot2_f32_f16 v62, v6, v11, v62
	v_pack_b32_f16 v1, v1, v3
	v_pack_b32_f16 v0, v2, v4
	v_lshlrev_b32_e32 v2, 1, v5
	v_add_nc_u32_e32 v4, 64, v5
	v_cvt_f16_f32_e32 v3, v74
	v_dot2_f32_f16 v11, v7, v11, v31
	v_dot2_f32_f16 v31, v6, v12, v43
	buffer_store_b64 v[0:1], v2, s[4:7], null offen
	v_cvt_f16_f32_e32 v0, v75
	v_cvt_f16_f32_e32 v2, v77
	;; [unrolled: 1-line block ×3, first 2 shown]
	v_dot2_f32_f16 v39, v6, v13, v44
	v_dot2_f32_f16 v40, v6, v14, v45
	;; [unrolled: 1-line block ×7, first 2 shown]
	v_cvt_f16_f32_e32 v15, v69
	v_cvt_f16_f32_e32 v16, v64
	;; [unrolled: 1-line block ×4, first 2 shown]
	v_pack_b32_f16 v1, v1, v3
	v_pack_b32_f16 v0, v0, v2
	v_lshlrev_b32_e32 v20, 1, v4
	v_pack_b32_f16 v3, v16, v18
	v_pack_b32_f16 v2, v15, v19
	v_add_lshl_u32 v4, v4, s19, 1
	v_cvt_f16_f32_e32 v16, v67
	v_cvt_f16_f32_e32 v18, v68
	s_clause 0x1
	buffer_store_b64 v[0:1], v20, s[4:7], null offen
	buffer_store_b64 v[2:3], v4, s[4:7], null offen
	v_add_nc_u32_e32 v2, s19, v5
	v_cvt_f16_f32_e32 v15, v51
	v_cvt_f16_f32_e32 v19, v53
	v_pack_b32_f16 v1, v16, v18
	v_cvt_f16_f32_e32 v3, v72
	v_cvt_f16_f32_e32 v4, v71
	v_add_nc_u32_e32 v16, s19, v2
	v_pack_b32_f16 v0, v15, v19
	v_lshlrev_b32_e32 v15, 1, v2
	v_cvt_f16_f32_e32 v2, v70
	v_cvt_f16_f32_e32 v5, v73
	v_pack_b32_f16 v3, v3, v4
	v_cvt_f16_f32_e32 v4, v54
	v_cvt_f16_f32_e32 v18, v48
	;; [unrolled: 1-line block ×4, first 2 shown]
	v_add_nc_u32_e32 v21, 64, v16
	v_pack_b32_f16 v2, v2, v5
	v_lshlrev_b32_e32 v22, 1, v16
	v_pack_b32_f16 v5, v18, v19
	v_pack_b32_f16 v4, v4, v20
	v_lshlrev_b32_e32 v18, 1, v21
	s_clause 0x2
	buffer_store_b64 v[0:1], v15, s[4:7], null offen
	buffer_store_b64 v[2:3], v22, s[4:7], null offen
	;; [unrolled: 1-line block ×3, first 2 shown]
	v_add_nc_u32_e32 v4, s19, v16
	v_cvt_f16_f32_e32 v19, v42
	v_cvt_f16_f32_e32 v20, v37
	;; [unrolled: 1-line block ×12, first 2 shown]
	v_lshl_add_u32 v18, s19, 6, v4
	v_pack_b32_f16 v1, v20, v23
	v_pack_b32_f16 v0, v19, v36
	v_add_lshl_u32 v15, v21, s19, 1
	v_pack_b32_f16 v3, v2, v3
	v_pack_b32_f16 v2, v5, v16
	v_lshlrev_b32_e32 v16, 1, v4
	v_pack_b32_f16 v5, v10, v11
	v_pack_b32_f16 v4, v8, v9
	v_lshlrev_b32_e32 v8, 1, v18
	s_clause 0x1
	buffer_store_b64 v[0:1], v15, s[4:7], null offen
	buffer_store_b64 v[2:3], v16, s[4:7], null offen
	v_add_nc_u32_e32 v2, 64, v18
	v_cvt_f16_f32_e32 v0, v14
	v_cvt_f16_f32_e32 v1, v7
	buffer_store_b64 v[4:5], v8, s[4:7], null offen
	v_cvt_f16_f32_e32 v3, v12
	v_cvt_f16_f32_e32 v4, v13
	;; [unrolled: 1-line block ×6, first 2 shown]
	v_subrev_nc_u32_e32 v9, s19, v2
	v_pack_b32_f16 v1, v0, v1
	v_pack_b32_f16 v0, v3, v4
	v_lshlrev_b32_e32 v4, 1, v2
	v_pack_b32_f16 v3, v7, v6
	v_pack_b32_f16 v2, v5, v8
	v_lshlrev_b32_e32 v5, 1, v9
	s_clause 0x1
	buffer_store_b64 v[0:1], v4, s[4:7], null offen
	buffer_store_b64 v[2:3], v5, s[4:7], null offen
	v_subrev_nc_u32_e32 v2, 64, v9
	v_cvt_f16_f32_e32 v6, v59
	v_cvt_f16_f32_e32 v10, v60
	;; [unrolled: 1-line block ×4, first 2 shown]
	v_subrev_nc_u32_e32 v5, s19, v2
	v_cvt_f16_f32_e32 v3, v80
	v_cvt_f16_f32_e32 v4, v81
	v_pack_b32_f16 v0, v6, v10
	v_lshlrev_b32_e32 v10, 1, v2
	v_cvt_f16_f32_e32 v2, v78
	v_cvt_f16_f32_e32 v6, v79
	v_add_nc_u32_e32 v11, 64, v5
	v_pack_b32_f16 v1, v7, v8
	v_pack_b32_f16 v3, v3, v4
	v_cvt_f16_f32_e32 v4, v28
	v_cvt_f16_f32_e32 v7, v17
	;; [unrolled: 1-line block ×4, first 2 shown]
	v_pack_b32_f16 v2, v2, v6
	v_subrev_nc_u32_e32 v6, s19, v11
	v_lshlrev_b32_e32 v12, 1, v5
	v_pack_b32_f16 v5, v7, v8
	v_pack_b32_f16 v4, v4, v9
	v_lshlrev_b32_e32 v13, 1, v11
	v_cvt_f16_f32_e32 v8, v27
	v_cvt_f16_f32_e32 v9, v26
	v_cvt_f16_f32_e32 v7, v25
	v_cvt_f16_f32_e32 v11, v24
	v_cvt_f16_f32_e32 v14, v35
	v_cvt_f16_f32_e32 v15, v33
	v_cvt_f16_f32_e32 v16, v32
	v_cvt_f16_f32_e32 v17, v34
	v_lshlrev_b32_e32 v18, 1, v6
	v_pack_b32_f16 v7, v7, v11
	v_pack_b32_f16 v6, v8, v9
	;; [unrolled: 1-line block ×4, first 2 shown]
	v_add_nc_u32_e32 v11, 0xffffff80, v18
	s_clause 0x4
	buffer_store_b64 v[0:1], v10, s[4:7], null offen
	buffer_store_b64 v[2:3], v12, s[4:7], null offen
	;; [unrolled: 1-line block ×5, first 2 shown]
	s_nop 0
	s_sendmsg sendmsg(MSG_DEALLOC_VGPRS)
	s_endpgm
	.section	.rodata,"a",@progbits
	.p2align	6, 0x0
	.amdhsa_kernel _ZN2ck19kernel_gemm_dl_v1r3INS_28GridwiseGemmDl_km_kn_mn_v1r3ILi256EDF16_fDF16_LNS_25InMemoryDataOperationEnumE0ENS_16TensorDescriptorINS_5TupleIJNS_5EmbedINS4_IJiiEEENS4_IJNS_17integral_constantIiLi1EEEiEEELb0EEENS_7UnMergeINS4_IJiNS7_IiLi2EEEEEELb0EEENS_11PassThroughIiEEEEENS4_IJNS_8SequenceIJLi0EEEENSI_IJLi2EEEENSI_IJLi1EEEEEEENS4_IJNSI_IJLi1ELi2EEEENSI_IJLi3ELi4EEEENSI_IJLi5EEEEEEENSI_IJLi3ELi5ELi4EEEElEENS3_INS4_IJNS5_IS6_NS4_IJiS8_EEELb0EEESE_SG_EEENS4_IJSJ_SL_SK_EEESQ_SR_lEENS3_INS4_IJSU_SG_SG_EEESW_NS4_IJSN_NSI_IJLi3EEEENSI_IJLi4EEEEEEESO_lEELi128ELi128ELi16ELi2ELi4ELi4ELi1ENSI_IJLi8ELi2EEEES13_NSI_IJLi2ELi1ELi4ELi2EEEENSI_IJLi8ELi1ELi32ELi1EEEENSI_IJLi0ELi3ELi1ELi2EEEES16_NSI_IJLi1ELi1ELi4ELi1EEEES16_NSI_IJLi1ELi1ELi4ELi2EEEES14_S15_S16_S16_S17_S16_S18_NSI_IJLi0ELi1ELi2ELi3ELi4ELi5EEEELi5ELi4EEEDF16_DF16_NS3_INS4_IJSA_SE_SG_SG_NSB_INS4_IJiNS7_IiLi128EEEEEELb0EEENSF_ISC_EEEEENS4_IJSJ_SK_SL_SZ_SP_S10_EEENS4_IJSN_SO_SP_NSI_IJLi6EEEENSI_IJLi7ELi8EEEENSI_IJLi9EEEEEEENSI_IJLi6ELi7ELi8ELi9EEEElEENS3_INS4_IJSU_SE_SG_SG_S1D_S1E_EEENS4_IJSJ_SL_SK_SZ_SP_S10_EEES1K_S1L_lEENS3_INS4_IJSU_SG_SG_NSB_INS4_IJiSC_NS7_IiLi64EEEEEELb0EEES1S_EEENS4_IJSJ_SL_SK_SZ_S10_EEENS4_IJSN_SZ_S10_NSI_IJLi5ELi6ELi7EEEENSI_IJLi8ELi9ELi10EEEEEEENSI_IJLi5ELi6ELi7ELi8ELi9ELi10EEEElEENS_31BlockToCTileMap_M00_N00_M01_N01ILi128ELi128ES12_Lb0EEELb1ELb0EEEvPKT0_S24_PT1_T2_T3_T4_T5_
		.amdhsa_group_segment_fixed_size 32768
		.amdhsa_private_segment_fixed_size 0
		.amdhsa_kernarg_size 328
		.amdhsa_user_sgpr_count 2
		.amdhsa_user_sgpr_dispatch_ptr 0
		.amdhsa_user_sgpr_queue_ptr 0
		.amdhsa_user_sgpr_kernarg_segment_ptr 1
		.amdhsa_user_sgpr_dispatch_id 0
		.amdhsa_user_sgpr_private_segment_size 0
		.amdhsa_wavefront_size32 1
		.amdhsa_uses_dynamic_stack 0
		.amdhsa_enable_private_segment 0
		.amdhsa_system_sgpr_workgroup_id_x 1
		.amdhsa_system_sgpr_workgroup_id_y 0
		.amdhsa_system_sgpr_workgroup_id_z 0
		.amdhsa_system_sgpr_workgroup_info 0
		.amdhsa_system_vgpr_workitem_id 0
		.amdhsa_next_free_vgpr 198
		.amdhsa_next_free_sgpr 39
		.amdhsa_reserve_vcc 0
		.amdhsa_float_round_mode_32 0
		.amdhsa_float_round_mode_16_64 0
		.amdhsa_float_denorm_mode_32 3
		.amdhsa_float_denorm_mode_16_64 3
		.amdhsa_fp16_overflow 0
		.amdhsa_workgroup_processor_mode 1
		.amdhsa_memory_ordered 1
		.amdhsa_forward_progress 1
		.amdhsa_inst_pref_size 233
		.amdhsa_round_robin_scheduling 0
		.amdhsa_exception_fp_ieee_invalid_op 0
		.amdhsa_exception_fp_denorm_src 0
		.amdhsa_exception_fp_ieee_div_zero 0
		.amdhsa_exception_fp_ieee_overflow 0
		.amdhsa_exception_fp_ieee_underflow 0
		.amdhsa_exception_fp_ieee_inexact 0
		.amdhsa_exception_int_div_zero 0
	.end_amdhsa_kernel
	.section	.text._ZN2ck19kernel_gemm_dl_v1r3INS_28GridwiseGemmDl_km_kn_mn_v1r3ILi256EDF16_fDF16_LNS_25InMemoryDataOperationEnumE0ENS_16TensorDescriptorINS_5TupleIJNS_5EmbedINS4_IJiiEEENS4_IJNS_17integral_constantIiLi1EEEiEEELb0EEENS_7UnMergeINS4_IJiNS7_IiLi2EEEEEELb0EEENS_11PassThroughIiEEEEENS4_IJNS_8SequenceIJLi0EEEENSI_IJLi2EEEENSI_IJLi1EEEEEEENS4_IJNSI_IJLi1ELi2EEEENSI_IJLi3ELi4EEEENSI_IJLi5EEEEEEENSI_IJLi3ELi5ELi4EEEElEENS3_INS4_IJNS5_IS6_NS4_IJiS8_EEELb0EEESE_SG_EEENS4_IJSJ_SL_SK_EEESQ_SR_lEENS3_INS4_IJSU_SG_SG_EEESW_NS4_IJSN_NSI_IJLi3EEEENSI_IJLi4EEEEEEESO_lEELi128ELi128ELi16ELi2ELi4ELi4ELi1ENSI_IJLi8ELi2EEEES13_NSI_IJLi2ELi1ELi4ELi2EEEENSI_IJLi8ELi1ELi32ELi1EEEENSI_IJLi0ELi3ELi1ELi2EEEES16_NSI_IJLi1ELi1ELi4ELi1EEEES16_NSI_IJLi1ELi1ELi4ELi2EEEES14_S15_S16_S16_S17_S16_S18_NSI_IJLi0ELi1ELi2ELi3ELi4ELi5EEEELi5ELi4EEEDF16_DF16_NS3_INS4_IJSA_SE_SG_SG_NSB_INS4_IJiNS7_IiLi128EEEEEELb0EEENSF_ISC_EEEEENS4_IJSJ_SK_SL_SZ_SP_S10_EEENS4_IJSN_SO_SP_NSI_IJLi6EEEENSI_IJLi7ELi8EEEENSI_IJLi9EEEEEEENSI_IJLi6ELi7ELi8ELi9EEEElEENS3_INS4_IJSU_SE_SG_SG_S1D_S1E_EEENS4_IJSJ_SL_SK_SZ_SP_S10_EEES1K_S1L_lEENS3_INS4_IJSU_SG_SG_NSB_INS4_IJiSC_NS7_IiLi64EEEEEELb0EEES1S_EEENS4_IJSJ_SL_SK_SZ_S10_EEENS4_IJSN_SZ_S10_NSI_IJLi5ELi6ELi7EEEENSI_IJLi8ELi9ELi10EEEEEEENSI_IJLi5ELi6ELi7ELi8ELi9ELi10EEEElEENS_31BlockToCTileMap_M00_N00_M01_N01ILi128ELi128ES12_Lb0EEELb1ELb0EEEvPKT0_S24_PT1_T2_T3_T4_T5_,"axG",@progbits,_ZN2ck19kernel_gemm_dl_v1r3INS_28GridwiseGemmDl_km_kn_mn_v1r3ILi256EDF16_fDF16_LNS_25InMemoryDataOperationEnumE0ENS_16TensorDescriptorINS_5TupleIJNS_5EmbedINS4_IJiiEEENS4_IJNS_17integral_constantIiLi1EEEiEEELb0EEENS_7UnMergeINS4_IJiNS7_IiLi2EEEEEELb0EEENS_11PassThroughIiEEEEENS4_IJNS_8SequenceIJLi0EEEENSI_IJLi2EEEENSI_IJLi1EEEEEEENS4_IJNSI_IJLi1ELi2EEEENSI_IJLi3ELi4EEEENSI_IJLi5EEEEEEENSI_IJLi3ELi5ELi4EEEElEENS3_INS4_IJNS5_IS6_NS4_IJiS8_EEELb0EEESE_SG_EEENS4_IJSJ_SL_SK_EEESQ_SR_lEENS3_INS4_IJSU_SG_SG_EEESW_NS4_IJSN_NSI_IJLi3EEEENSI_IJLi4EEEEEEESO_lEELi128ELi128ELi16ELi2ELi4ELi4ELi1ENSI_IJLi8ELi2EEEES13_NSI_IJLi2ELi1ELi4ELi2EEEENSI_IJLi8ELi1ELi32ELi1EEEENSI_IJLi0ELi3ELi1ELi2EEEES16_NSI_IJLi1ELi1ELi4ELi1EEEES16_NSI_IJLi1ELi1ELi4ELi2EEEES14_S15_S16_S16_S17_S16_S18_NSI_IJLi0ELi1ELi2ELi3ELi4ELi5EEEELi5ELi4EEEDF16_DF16_NS3_INS4_IJSA_SE_SG_SG_NSB_INS4_IJiNS7_IiLi128EEEEEELb0EEENSF_ISC_EEEEENS4_IJSJ_SK_SL_SZ_SP_S10_EEENS4_IJSN_SO_SP_NSI_IJLi6EEEENSI_IJLi7ELi8EEEENSI_IJLi9EEEEEEENSI_IJLi6ELi7ELi8ELi9EEEElEENS3_INS4_IJSU_SE_SG_SG_S1D_S1E_EEENS4_IJSJ_SL_SK_SZ_SP_S10_EEES1K_S1L_lEENS3_INS4_IJSU_SG_SG_NSB_INS4_IJiSC_NS7_IiLi64EEEEEELb0EEES1S_EEENS4_IJSJ_SL_SK_SZ_S10_EEENS4_IJSN_SZ_S10_NSI_IJLi5ELi6ELi7EEEENSI_IJLi8ELi9ELi10EEEEEEENSI_IJLi5ELi6ELi7ELi8ELi9ELi10EEEElEENS_31BlockToCTileMap_M00_N00_M01_N01ILi128ELi128ES12_Lb0EEELb1ELb0EEEvPKT0_S24_PT1_T2_T3_T4_T5_,comdat
.Lfunc_end2:
	.size	_ZN2ck19kernel_gemm_dl_v1r3INS_28GridwiseGemmDl_km_kn_mn_v1r3ILi256EDF16_fDF16_LNS_25InMemoryDataOperationEnumE0ENS_16TensorDescriptorINS_5TupleIJNS_5EmbedINS4_IJiiEEENS4_IJNS_17integral_constantIiLi1EEEiEEELb0EEENS_7UnMergeINS4_IJiNS7_IiLi2EEEEEELb0EEENS_11PassThroughIiEEEEENS4_IJNS_8SequenceIJLi0EEEENSI_IJLi2EEEENSI_IJLi1EEEEEEENS4_IJNSI_IJLi1ELi2EEEENSI_IJLi3ELi4EEEENSI_IJLi5EEEEEEENSI_IJLi3ELi5ELi4EEEElEENS3_INS4_IJNS5_IS6_NS4_IJiS8_EEELb0EEESE_SG_EEENS4_IJSJ_SL_SK_EEESQ_SR_lEENS3_INS4_IJSU_SG_SG_EEESW_NS4_IJSN_NSI_IJLi3EEEENSI_IJLi4EEEEEEESO_lEELi128ELi128ELi16ELi2ELi4ELi4ELi1ENSI_IJLi8ELi2EEEES13_NSI_IJLi2ELi1ELi4ELi2EEEENSI_IJLi8ELi1ELi32ELi1EEEENSI_IJLi0ELi3ELi1ELi2EEEES16_NSI_IJLi1ELi1ELi4ELi1EEEES16_NSI_IJLi1ELi1ELi4ELi2EEEES14_S15_S16_S16_S17_S16_S18_NSI_IJLi0ELi1ELi2ELi3ELi4ELi5EEEELi5ELi4EEEDF16_DF16_NS3_INS4_IJSA_SE_SG_SG_NSB_INS4_IJiNS7_IiLi128EEEEEELb0EEENSF_ISC_EEEEENS4_IJSJ_SK_SL_SZ_SP_S10_EEENS4_IJSN_SO_SP_NSI_IJLi6EEEENSI_IJLi7ELi8EEEENSI_IJLi9EEEEEEENSI_IJLi6ELi7ELi8ELi9EEEElEENS3_INS4_IJSU_SE_SG_SG_S1D_S1E_EEENS4_IJSJ_SL_SK_SZ_SP_S10_EEES1K_S1L_lEENS3_INS4_IJSU_SG_SG_NSB_INS4_IJiSC_NS7_IiLi64EEEEEELb0EEES1S_EEENS4_IJSJ_SL_SK_SZ_S10_EEENS4_IJSN_SZ_S10_NSI_IJLi5ELi6ELi7EEEENSI_IJLi8ELi9ELi10EEEEEEENSI_IJLi5ELi6ELi7ELi8ELi9ELi10EEEElEENS_31BlockToCTileMap_M00_N00_M01_N01ILi128ELi128ES12_Lb0EEELb1ELb0EEEvPKT0_S24_PT1_T2_T3_T4_T5_, .Lfunc_end2-_ZN2ck19kernel_gemm_dl_v1r3INS_28GridwiseGemmDl_km_kn_mn_v1r3ILi256EDF16_fDF16_LNS_25InMemoryDataOperationEnumE0ENS_16TensorDescriptorINS_5TupleIJNS_5EmbedINS4_IJiiEEENS4_IJNS_17integral_constantIiLi1EEEiEEELb0EEENS_7UnMergeINS4_IJiNS7_IiLi2EEEEEELb0EEENS_11PassThroughIiEEEEENS4_IJNS_8SequenceIJLi0EEEENSI_IJLi2EEEENSI_IJLi1EEEEEEENS4_IJNSI_IJLi1ELi2EEEENSI_IJLi3ELi4EEEENSI_IJLi5EEEEEEENSI_IJLi3ELi5ELi4EEEElEENS3_INS4_IJNS5_IS6_NS4_IJiS8_EEELb0EEESE_SG_EEENS4_IJSJ_SL_SK_EEESQ_SR_lEENS3_INS4_IJSU_SG_SG_EEESW_NS4_IJSN_NSI_IJLi3EEEENSI_IJLi4EEEEEEESO_lEELi128ELi128ELi16ELi2ELi4ELi4ELi1ENSI_IJLi8ELi2EEEES13_NSI_IJLi2ELi1ELi4ELi2EEEENSI_IJLi8ELi1ELi32ELi1EEEENSI_IJLi0ELi3ELi1ELi2EEEES16_NSI_IJLi1ELi1ELi4ELi1EEEES16_NSI_IJLi1ELi1ELi4ELi2EEEES14_S15_S16_S16_S17_S16_S18_NSI_IJLi0ELi1ELi2ELi3ELi4ELi5EEEELi5ELi4EEEDF16_DF16_NS3_INS4_IJSA_SE_SG_SG_NSB_INS4_IJiNS7_IiLi128EEEEEELb0EEENSF_ISC_EEEEENS4_IJSJ_SK_SL_SZ_SP_S10_EEENS4_IJSN_SO_SP_NSI_IJLi6EEEENSI_IJLi7ELi8EEEENSI_IJLi9EEEEEEENSI_IJLi6ELi7ELi8ELi9EEEElEENS3_INS4_IJSU_SE_SG_SG_S1D_S1E_EEENS4_IJSJ_SL_SK_SZ_SP_S10_EEES1K_S1L_lEENS3_INS4_IJSU_SG_SG_NSB_INS4_IJiSC_NS7_IiLi64EEEEEELb0EEES1S_EEENS4_IJSJ_SL_SK_SZ_S10_EEENS4_IJSN_SZ_S10_NSI_IJLi5ELi6ELi7EEEENSI_IJLi8ELi9ELi10EEEEEEENSI_IJLi5ELi6ELi7ELi8ELi9ELi10EEEElEENS_31BlockToCTileMap_M00_N00_M01_N01ILi128ELi128ES12_Lb0EEELb1ELb0EEEvPKT0_S24_PT1_T2_T3_T4_T5_
                                        ; -- End function
	.set _ZN2ck19kernel_gemm_dl_v1r3INS_28GridwiseGemmDl_km_kn_mn_v1r3ILi256EDF16_fDF16_LNS_25InMemoryDataOperationEnumE0ENS_16TensorDescriptorINS_5TupleIJNS_5EmbedINS4_IJiiEEENS4_IJNS_17integral_constantIiLi1EEEiEEELb0EEENS_7UnMergeINS4_IJiNS7_IiLi2EEEEEELb0EEENS_11PassThroughIiEEEEENS4_IJNS_8SequenceIJLi0EEEENSI_IJLi2EEEENSI_IJLi1EEEEEEENS4_IJNSI_IJLi1ELi2EEEENSI_IJLi3ELi4EEEENSI_IJLi5EEEEEEENSI_IJLi3ELi5ELi4EEEElEENS3_INS4_IJNS5_IS6_NS4_IJiS8_EEELb0EEESE_SG_EEENS4_IJSJ_SL_SK_EEESQ_SR_lEENS3_INS4_IJSU_SG_SG_EEESW_NS4_IJSN_NSI_IJLi3EEEENSI_IJLi4EEEEEEESO_lEELi128ELi128ELi16ELi2ELi4ELi4ELi1ENSI_IJLi8ELi2EEEES13_NSI_IJLi2ELi1ELi4ELi2EEEENSI_IJLi8ELi1ELi32ELi1EEEENSI_IJLi0ELi3ELi1ELi2EEEES16_NSI_IJLi1ELi1ELi4ELi1EEEES16_NSI_IJLi1ELi1ELi4ELi2EEEES14_S15_S16_S16_S17_S16_S18_NSI_IJLi0ELi1ELi2ELi3ELi4ELi5EEEELi5ELi4EEEDF16_DF16_NS3_INS4_IJSA_SE_SG_SG_NSB_INS4_IJiNS7_IiLi128EEEEEELb0EEENSF_ISC_EEEEENS4_IJSJ_SK_SL_SZ_SP_S10_EEENS4_IJSN_SO_SP_NSI_IJLi6EEEENSI_IJLi7ELi8EEEENSI_IJLi9EEEEEEENSI_IJLi6ELi7ELi8ELi9EEEElEENS3_INS4_IJSU_SE_SG_SG_S1D_S1E_EEENS4_IJSJ_SL_SK_SZ_SP_S10_EEES1K_S1L_lEENS3_INS4_IJSU_SG_SG_NSB_INS4_IJiSC_NS7_IiLi64EEEEEELb0EEES1S_EEENS4_IJSJ_SL_SK_SZ_S10_EEENS4_IJSN_SZ_S10_NSI_IJLi5ELi6ELi7EEEENSI_IJLi8ELi9ELi10EEEEEEENSI_IJLi5ELi6ELi7ELi8ELi9ELi10EEEElEENS_31BlockToCTileMap_M00_N00_M01_N01ILi128ELi128ES12_Lb0EEELb1ELb0EEEvPKT0_S24_PT1_T2_T3_T4_T5_.num_vgpr, 198
	.set _ZN2ck19kernel_gemm_dl_v1r3INS_28GridwiseGemmDl_km_kn_mn_v1r3ILi256EDF16_fDF16_LNS_25InMemoryDataOperationEnumE0ENS_16TensorDescriptorINS_5TupleIJNS_5EmbedINS4_IJiiEEENS4_IJNS_17integral_constantIiLi1EEEiEEELb0EEENS_7UnMergeINS4_IJiNS7_IiLi2EEEEEELb0EEENS_11PassThroughIiEEEEENS4_IJNS_8SequenceIJLi0EEEENSI_IJLi2EEEENSI_IJLi1EEEEEEENS4_IJNSI_IJLi1ELi2EEEENSI_IJLi3ELi4EEEENSI_IJLi5EEEEEEENSI_IJLi3ELi5ELi4EEEElEENS3_INS4_IJNS5_IS6_NS4_IJiS8_EEELb0EEESE_SG_EEENS4_IJSJ_SL_SK_EEESQ_SR_lEENS3_INS4_IJSU_SG_SG_EEESW_NS4_IJSN_NSI_IJLi3EEEENSI_IJLi4EEEEEEESO_lEELi128ELi128ELi16ELi2ELi4ELi4ELi1ENSI_IJLi8ELi2EEEES13_NSI_IJLi2ELi1ELi4ELi2EEEENSI_IJLi8ELi1ELi32ELi1EEEENSI_IJLi0ELi3ELi1ELi2EEEES16_NSI_IJLi1ELi1ELi4ELi1EEEES16_NSI_IJLi1ELi1ELi4ELi2EEEES14_S15_S16_S16_S17_S16_S18_NSI_IJLi0ELi1ELi2ELi3ELi4ELi5EEEELi5ELi4EEEDF16_DF16_NS3_INS4_IJSA_SE_SG_SG_NSB_INS4_IJiNS7_IiLi128EEEEEELb0EEENSF_ISC_EEEEENS4_IJSJ_SK_SL_SZ_SP_S10_EEENS4_IJSN_SO_SP_NSI_IJLi6EEEENSI_IJLi7ELi8EEEENSI_IJLi9EEEEEEENSI_IJLi6ELi7ELi8ELi9EEEElEENS3_INS4_IJSU_SE_SG_SG_S1D_S1E_EEENS4_IJSJ_SL_SK_SZ_SP_S10_EEES1K_S1L_lEENS3_INS4_IJSU_SG_SG_NSB_INS4_IJiSC_NS7_IiLi64EEEEEELb0EEES1S_EEENS4_IJSJ_SL_SK_SZ_S10_EEENS4_IJSN_SZ_S10_NSI_IJLi5ELi6ELi7EEEENSI_IJLi8ELi9ELi10EEEEEEENSI_IJLi5ELi6ELi7ELi8ELi9ELi10EEEElEENS_31BlockToCTileMap_M00_N00_M01_N01ILi128ELi128ES12_Lb0EEELb1ELb0EEEvPKT0_S24_PT1_T2_T3_T4_T5_.num_agpr, 0
	.set _ZN2ck19kernel_gemm_dl_v1r3INS_28GridwiseGemmDl_km_kn_mn_v1r3ILi256EDF16_fDF16_LNS_25InMemoryDataOperationEnumE0ENS_16TensorDescriptorINS_5TupleIJNS_5EmbedINS4_IJiiEEENS4_IJNS_17integral_constantIiLi1EEEiEEELb0EEENS_7UnMergeINS4_IJiNS7_IiLi2EEEEEELb0EEENS_11PassThroughIiEEEEENS4_IJNS_8SequenceIJLi0EEEENSI_IJLi2EEEENSI_IJLi1EEEEEEENS4_IJNSI_IJLi1ELi2EEEENSI_IJLi3ELi4EEEENSI_IJLi5EEEEEEENSI_IJLi3ELi5ELi4EEEElEENS3_INS4_IJNS5_IS6_NS4_IJiS8_EEELb0EEESE_SG_EEENS4_IJSJ_SL_SK_EEESQ_SR_lEENS3_INS4_IJSU_SG_SG_EEESW_NS4_IJSN_NSI_IJLi3EEEENSI_IJLi4EEEEEEESO_lEELi128ELi128ELi16ELi2ELi4ELi4ELi1ENSI_IJLi8ELi2EEEES13_NSI_IJLi2ELi1ELi4ELi2EEEENSI_IJLi8ELi1ELi32ELi1EEEENSI_IJLi0ELi3ELi1ELi2EEEES16_NSI_IJLi1ELi1ELi4ELi1EEEES16_NSI_IJLi1ELi1ELi4ELi2EEEES14_S15_S16_S16_S17_S16_S18_NSI_IJLi0ELi1ELi2ELi3ELi4ELi5EEEELi5ELi4EEEDF16_DF16_NS3_INS4_IJSA_SE_SG_SG_NSB_INS4_IJiNS7_IiLi128EEEEEELb0EEENSF_ISC_EEEEENS4_IJSJ_SK_SL_SZ_SP_S10_EEENS4_IJSN_SO_SP_NSI_IJLi6EEEENSI_IJLi7ELi8EEEENSI_IJLi9EEEEEEENSI_IJLi6ELi7ELi8ELi9EEEElEENS3_INS4_IJSU_SE_SG_SG_S1D_S1E_EEENS4_IJSJ_SL_SK_SZ_SP_S10_EEES1K_S1L_lEENS3_INS4_IJSU_SG_SG_NSB_INS4_IJiSC_NS7_IiLi64EEEEEELb0EEES1S_EEENS4_IJSJ_SL_SK_SZ_S10_EEENS4_IJSN_SZ_S10_NSI_IJLi5ELi6ELi7EEEENSI_IJLi8ELi9ELi10EEEEEEENSI_IJLi5ELi6ELi7ELi8ELi9ELi10EEEElEENS_31BlockToCTileMap_M00_N00_M01_N01ILi128ELi128ES12_Lb0EEELb1ELb0EEEvPKT0_S24_PT1_T2_T3_T4_T5_.numbered_sgpr, 39
	.set _ZN2ck19kernel_gemm_dl_v1r3INS_28GridwiseGemmDl_km_kn_mn_v1r3ILi256EDF16_fDF16_LNS_25InMemoryDataOperationEnumE0ENS_16TensorDescriptorINS_5TupleIJNS_5EmbedINS4_IJiiEEENS4_IJNS_17integral_constantIiLi1EEEiEEELb0EEENS_7UnMergeINS4_IJiNS7_IiLi2EEEEEELb0EEENS_11PassThroughIiEEEEENS4_IJNS_8SequenceIJLi0EEEENSI_IJLi2EEEENSI_IJLi1EEEEEEENS4_IJNSI_IJLi1ELi2EEEENSI_IJLi3ELi4EEEENSI_IJLi5EEEEEEENSI_IJLi3ELi5ELi4EEEElEENS3_INS4_IJNS5_IS6_NS4_IJiS8_EEELb0EEESE_SG_EEENS4_IJSJ_SL_SK_EEESQ_SR_lEENS3_INS4_IJSU_SG_SG_EEESW_NS4_IJSN_NSI_IJLi3EEEENSI_IJLi4EEEEEEESO_lEELi128ELi128ELi16ELi2ELi4ELi4ELi1ENSI_IJLi8ELi2EEEES13_NSI_IJLi2ELi1ELi4ELi2EEEENSI_IJLi8ELi1ELi32ELi1EEEENSI_IJLi0ELi3ELi1ELi2EEEES16_NSI_IJLi1ELi1ELi4ELi1EEEES16_NSI_IJLi1ELi1ELi4ELi2EEEES14_S15_S16_S16_S17_S16_S18_NSI_IJLi0ELi1ELi2ELi3ELi4ELi5EEEELi5ELi4EEEDF16_DF16_NS3_INS4_IJSA_SE_SG_SG_NSB_INS4_IJiNS7_IiLi128EEEEEELb0EEENSF_ISC_EEEEENS4_IJSJ_SK_SL_SZ_SP_S10_EEENS4_IJSN_SO_SP_NSI_IJLi6EEEENSI_IJLi7ELi8EEEENSI_IJLi9EEEEEEENSI_IJLi6ELi7ELi8ELi9EEEElEENS3_INS4_IJSU_SE_SG_SG_S1D_S1E_EEENS4_IJSJ_SL_SK_SZ_SP_S10_EEES1K_S1L_lEENS3_INS4_IJSU_SG_SG_NSB_INS4_IJiSC_NS7_IiLi64EEEEEELb0EEES1S_EEENS4_IJSJ_SL_SK_SZ_S10_EEENS4_IJSN_SZ_S10_NSI_IJLi5ELi6ELi7EEEENSI_IJLi8ELi9ELi10EEEEEEENSI_IJLi5ELi6ELi7ELi8ELi9ELi10EEEElEENS_31BlockToCTileMap_M00_N00_M01_N01ILi128ELi128ES12_Lb0EEELb1ELb0EEEvPKT0_S24_PT1_T2_T3_T4_T5_.num_named_barrier, 0
	.set _ZN2ck19kernel_gemm_dl_v1r3INS_28GridwiseGemmDl_km_kn_mn_v1r3ILi256EDF16_fDF16_LNS_25InMemoryDataOperationEnumE0ENS_16TensorDescriptorINS_5TupleIJNS_5EmbedINS4_IJiiEEENS4_IJNS_17integral_constantIiLi1EEEiEEELb0EEENS_7UnMergeINS4_IJiNS7_IiLi2EEEEEELb0EEENS_11PassThroughIiEEEEENS4_IJNS_8SequenceIJLi0EEEENSI_IJLi2EEEENSI_IJLi1EEEEEEENS4_IJNSI_IJLi1ELi2EEEENSI_IJLi3ELi4EEEENSI_IJLi5EEEEEEENSI_IJLi3ELi5ELi4EEEElEENS3_INS4_IJNS5_IS6_NS4_IJiS8_EEELb0EEESE_SG_EEENS4_IJSJ_SL_SK_EEESQ_SR_lEENS3_INS4_IJSU_SG_SG_EEESW_NS4_IJSN_NSI_IJLi3EEEENSI_IJLi4EEEEEEESO_lEELi128ELi128ELi16ELi2ELi4ELi4ELi1ENSI_IJLi8ELi2EEEES13_NSI_IJLi2ELi1ELi4ELi2EEEENSI_IJLi8ELi1ELi32ELi1EEEENSI_IJLi0ELi3ELi1ELi2EEEES16_NSI_IJLi1ELi1ELi4ELi1EEEES16_NSI_IJLi1ELi1ELi4ELi2EEEES14_S15_S16_S16_S17_S16_S18_NSI_IJLi0ELi1ELi2ELi3ELi4ELi5EEEELi5ELi4EEEDF16_DF16_NS3_INS4_IJSA_SE_SG_SG_NSB_INS4_IJiNS7_IiLi128EEEEEELb0EEENSF_ISC_EEEEENS4_IJSJ_SK_SL_SZ_SP_S10_EEENS4_IJSN_SO_SP_NSI_IJLi6EEEENSI_IJLi7ELi8EEEENSI_IJLi9EEEEEEENSI_IJLi6ELi7ELi8ELi9EEEElEENS3_INS4_IJSU_SE_SG_SG_S1D_S1E_EEENS4_IJSJ_SL_SK_SZ_SP_S10_EEES1K_S1L_lEENS3_INS4_IJSU_SG_SG_NSB_INS4_IJiSC_NS7_IiLi64EEEEEELb0EEES1S_EEENS4_IJSJ_SL_SK_SZ_S10_EEENS4_IJSN_SZ_S10_NSI_IJLi5ELi6ELi7EEEENSI_IJLi8ELi9ELi10EEEEEEENSI_IJLi5ELi6ELi7ELi8ELi9ELi10EEEElEENS_31BlockToCTileMap_M00_N00_M01_N01ILi128ELi128ES12_Lb0EEELb1ELb0EEEvPKT0_S24_PT1_T2_T3_T4_T5_.private_seg_size, 0
	.set _ZN2ck19kernel_gemm_dl_v1r3INS_28GridwiseGemmDl_km_kn_mn_v1r3ILi256EDF16_fDF16_LNS_25InMemoryDataOperationEnumE0ENS_16TensorDescriptorINS_5TupleIJNS_5EmbedINS4_IJiiEEENS4_IJNS_17integral_constantIiLi1EEEiEEELb0EEENS_7UnMergeINS4_IJiNS7_IiLi2EEEEEELb0EEENS_11PassThroughIiEEEEENS4_IJNS_8SequenceIJLi0EEEENSI_IJLi2EEEENSI_IJLi1EEEEEEENS4_IJNSI_IJLi1ELi2EEEENSI_IJLi3ELi4EEEENSI_IJLi5EEEEEEENSI_IJLi3ELi5ELi4EEEElEENS3_INS4_IJNS5_IS6_NS4_IJiS8_EEELb0EEESE_SG_EEENS4_IJSJ_SL_SK_EEESQ_SR_lEENS3_INS4_IJSU_SG_SG_EEESW_NS4_IJSN_NSI_IJLi3EEEENSI_IJLi4EEEEEEESO_lEELi128ELi128ELi16ELi2ELi4ELi4ELi1ENSI_IJLi8ELi2EEEES13_NSI_IJLi2ELi1ELi4ELi2EEEENSI_IJLi8ELi1ELi32ELi1EEEENSI_IJLi0ELi3ELi1ELi2EEEES16_NSI_IJLi1ELi1ELi4ELi1EEEES16_NSI_IJLi1ELi1ELi4ELi2EEEES14_S15_S16_S16_S17_S16_S18_NSI_IJLi0ELi1ELi2ELi3ELi4ELi5EEEELi5ELi4EEEDF16_DF16_NS3_INS4_IJSA_SE_SG_SG_NSB_INS4_IJiNS7_IiLi128EEEEEELb0EEENSF_ISC_EEEEENS4_IJSJ_SK_SL_SZ_SP_S10_EEENS4_IJSN_SO_SP_NSI_IJLi6EEEENSI_IJLi7ELi8EEEENSI_IJLi9EEEEEEENSI_IJLi6ELi7ELi8ELi9EEEElEENS3_INS4_IJSU_SE_SG_SG_S1D_S1E_EEENS4_IJSJ_SL_SK_SZ_SP_S10_EEES1K_S1L_lEENS3_INS4_IJSU_SG_SG_NSB_INS4_IJiSC_NS7_IiLi64EEEEEELb0EEES1S_EEENS4_IJSJ_SL_SK_SZ_S10_EEENS4_IJSN_SZ_S10_NSI_IJLi5ELi6ELi7EEEENSI_IJLi8ELi9ELi10EEEEEEENSI_IJLi5ELi6ELi7ELi8ELi9ELi10EEEElEENS_31BlockToCTileMap_M00_N00_M01_N01ILi128ELi128ES12_Lb0EEELb1ELb0EEEvPKT0_S24_PT1_T2_T3_T4_T5_.uses_vcc, 0
	.set _ZN2ck19kernel_gemm_dl_v1r3INS_28GridwiseGemmDl_km_kn_mn_v1r3ILi256EDF16_fDF16_LNS_25InMemoryDataOperationEnumE0ENS_16TensorDescriptorINS_5TupleIJNS_5EmbedINS4_IJiiEEENS4_IJNS_17integral_constantIiLi1EEEiEEELb0EEENS_7UnMergeINS4_IJiNS7_IiLi2EEEEEELb0EEENS_11PassThroughIiEEEEENS4_IJNS_8SequenceIJLi0EEEENSI_IJLi2EEEENSI_IJLi1EEEEEEENS4_IJNSI_IJLi1ELi2EEEENSI_IJLi3ELi4EEEENSI_IJLi5EEEEEEENSI_IJLi3ELi5ELi4EEEElEENS3_INS4_IJNS5_IS6_NS4_IJiS8_EEELb0EEESE_SG_EEENS4_IJSJ_SL_SK_EEESQ_SR_lEENS3_INS4_IJSU_SG_SG_EEESW_NS4_IJSN_NSI_IJLi3EEEENSI_IJLi4EEEEEEESO_lEELi128ELi128ELi16ELi2ELi4ELi4ELi1ENSI_IJLi8ELi2EEEES13_NSI_IJLi2ELi1ELi4ELi2EEEENSI_IJLi8ELi1ELi32ELi1EEEENSI_IJLi0ELi3ELi1ELi2EEEES16_NSI_IJLi1ELi1ELi4ELi1EEEES16_NSI_IJLi1ELi1ELi4ELi2EEEES14_S15_S16_S16_S17_S16_S18_NSI_IJLi0ELi1ELi2ELi3ELi4ELi5EEEELi5ELi4EEEDF16_DF16_NS3_INS4_IJSA_SE_SG_SG_NSB_INS4_IJiNS7_IiLi128EEEEEELb0EEENSF_ISC_EEEEENS4_IJSJ_SK_SL_SZ_SP_S10_EEENS4_IJSN_SO_SP_NSI_IJLi6EEEENSI_IJLi7ELi8EEEENSI_IJLi9EEEEEEENSI_IJLi6ELi7ELi8ELi9EEEElEENS3_INS4_IJSU_SE_SG_SG_S1D_S1E_EEENS4_IJSJ_SL_SK_SZ_SP_S10_EEES1K_S1L_lEENS3_INS4_IJSU_SG_SG_NSB_INS4_IJiSC_NS7_IiLi64EEEEEELb0EEES1S_EEENS4_IJSJ_SL_SK_SZ_S10_EEENS4_IJSN_SZ_S10_NSI_IJLi5ELi6ELi7EEEENSI_IJLi8ELi9ELi10EEEEEEENSI_IJLi5ELi6ELi7ELi8ELi9ELi10EEEElEENS_31BlockToCTileMap_M00_N00_M01_N01ILi128ELi128ES12_Lb0EEELb1ELb0EEEvPKT0_S24_PT1_T2_T3_T4_T5_.uses_flat_scratch, 0
	.set _ZN2ck19kernel_gemm_dl_v1r3INS_28GridwiseGemmDl_km_kn_mn_v1r3ILi256EDF16_fDF16_LNS_25InMemoryDataOperationEnumE0ENS_16TensorDescriptorINS_5TupleIJNS_5EmbedINS4_IJiiEEENS4_IJNS_17integral_constantIiLi1EEEiEEELb0EEENS_7UnMergeINS4_IJiNS7_IiLi2EEEEEELb0EEENS_11PassThroughIiEEEEENS4_IJNS_8SequenceIJLi0EEEENSI_IJLi2EEEENSI_IJLi1EEEEEEENS4_IJNSI_IJLi1ELi2EEEENSI_IJLi3ELi4EEEENSI_IJLi5EEEEEEENSI_IJLi3ELi5ELi4EEEElEENS3_INS4_IJNS5_IS6_NS4_IJiS8_EEELb0EEESE_SG_EEENS4_IJSJ_SL_SK_EEESQ_SR_lEENS3_INS4_IJSU_SG_SG_EEESW_NS4_IJSN_NSI_IJLi3EEEENSI_IJLi4EEEEEEESO_lEELi128ELi128ELi16ELi2ELi4ELi4ELi1ENSI_IJLi8ELi2EEEES13_NSI_IJLi2ELi1ELi4ELi2EEEENSI_IJLi8ELi1ELi32ELi1EEEENSI_IJLi0ELi3ELi1ELi2EEEES16_NSI_IJLi1ELi1ELi4ELi1EEEES16_NSI_IJLi1ELi1ELi4ELi2EEEES14_S15_S16_S16_S17_S16_S18_NSI_IJLi0ELi1ELi2ELi3ELi4ELi5EEEELi5ELi4EEEDF16_DF16_NS3_INS4_IJSA_SE_SG_SG_NSB_INS4_IJiNS7_IiLi128EEEEEELb0EEENSF_ISC_EEEEENS4_IJSJ_SK_SL_SZ_SP_S10_EEENS4_IJSN_SO_SP_NSI_IJLi6EEEENSI_IJLi7ELi8EEEENSI_IJLi9EEEEEEENSI_IJLi6ELi7ELi8ELi9EEEElEENS3_INS4_IJSU_SE_SG_SG_S1D_S1E_EEENS4_IJSJ_SL_SK_SZ_SP_S10_EEES1K_S1L_lEENS3_INS4_IJSU_SG_SG_NSB_INS4_IJiSC_NS7_IiLi64EEEEEELb0EEES1S_EEENS4_IJSJ_SL_SK_SZ_S10_EEENS4_IJSN_SZ_S10_NSI_IJLi5ELi6ELi7EEEENSI_IJLi8ELi9ELi10EEEEEEENSI_IJLi5ELi6ELi7ELi8ELi9ELi10EEEElEENS_31BlockToCTileMap_M00_N00_M01_N01ILi128ELi128ES12_Lb0EEELb1ELb0EEEvPKT0_S24_PT1_T2_T3_T4_T5_.has_dyn_sized_stack, 0
	.set _ZN2ck19kernel_gemm_dl_v1r3INS_28GridwiseGemmDl_km_kn_mn_v1r3ILi256EDF16_fDF16_LNS_25InMemoryDataOperationEnumE0ENS_16TensorDescriptorINS_5TupleIJNS_5EmbedINS4_IJiiEEENS4_IJNS_17integral_constantIiLi1EEEiEEELb0EEENS_7UnMergeINS4_IJiNS7_IiLi2EEEEEELb0EEENS_11PassThroughIiEEEEENS4_IJNS_8SequenceIJLi0EEEENSI_IJLi2EEEENSI_IJLi1EEEEEEENS4_IJNSI_IJLi1ELi2EEEENSI_IJLi3ELi4EEEENSI_IJLi5EEEEEEENSI_IJLi3ELi5ELi4EEEElEENS3_INS4_IJNS5_IS6_NS4_IJiS8_EEELb0EEESE_SG_EEENS4_IJSJ_SL_SK_EEESQ_SR_lEENS3_INS4_IJSU_SG_SG_EEESW_NS4_IJSN_NSI_IJLi3EEEENSI_IJLi4EEEEEEESO_lEELi128ELi128ELi16ELi2ELi4ELi4ELi1ENSI_IJLi8ELi2EEEES13_NSI_IJLi2ELi1ELi4ELi2EEEENSI_IJLi8ELi1ELi32ELi1EEEENSI_IJLi0ELi3ELi1ELi2EEEES16_NSI_IJLi1ELi1ELi4ELi1EEEES16_NSI_IJLi1ELi1ELi4ELi2EEEES14_S15_S16_S16_S17_S16_S18_NSI_IJLi0ELi1ELi2ELi3ELi4ELi5EEEELi5ELi4EEEDF16_DF16_NS3_INS4_IJSA_SE_SG_SG_NSB_INS4_IJiNS7_IiLi128EEEEEELb0EEENSF_ISC_EEEEENS4_IJSJ_SK_SL_SZ_SP_S10_EEENS4_IJSN_SO_SP_NSI_IJLi6EEEENSI_IJLi7ELi8EEEENSI_IJLi9EEEEEEENSI_IJLi6ELi7ELi8ELi9EEEElEENS3_INS4_IJSU_SE_SG_SG_S1D_S1E_EEENS4_IJSJ_SL_SK_SZ_SP_S10_EEES1K_S1L_lEENS3_INS4_IJSU_SG_SG_NSB_INS4_IJiSC_NS7_IiLi64EEEEEELb0EEES1S_EEENS4_IJSJ_SL_SK_SZ_S10_EEENS4_IJSN_SZ_S10_NSI_IJLi5ELi6ELi7EEEENSI_IJLi8ELi9ELi10EEEEEEENSI_IJLi5ELi6ELi7ELi8ELi9ELi10EEEElEENS_31BlockToCTileMap_M00_N00_M01_N01ILi128ELi128ES12_Lb0EEELb1ELb0EEEvPKT0_S24_PT1_T2_T3_T4_T5_.has_recursion, 0
	.set _ZN2ck19kernel_gemm_dl_v1r3INS_28GridwiseGemmDl_km_kn_mn_v1r3ILi256EDF16_fDF16_LNS_25InMemoryDataOperationEnumE0ENS_16TensorDescriptorINS_5TupleIJNS_5EmbedINS4_IJiiEEENS4_IJNS_17integral_constantIiLi1EEEiEEELb0EEENS_7UnMergeINS4_IJiNS7_IiLi2EEEEEELb0EEENS_11PassThroughIiEEEEENS4_IJNS_8SequenceIJLi0EEEENSI_IJLi2EEEENSI_IJLi1EEEEEEENS4_IJNSI_IJLi1ELi2EEEENSI_IJLi3ELi4EEEENSI_IJLi5EEEEEEENSI_IJLi3ELi5ELi4EEEElEENS3_INS4_IJNS5_IS6_NS4_IJiS8_EEELb0EEESE_SG_EEENS4_IJSJ_SL_SK_EEESQ_SR_lEENS3_INS4_IJSU_SG_SG_EEESW_NS4_IJSN_NSI_IJLi3EEEENSI_IJLi4EEEEEEESO_lEELi128ELi128ELi16ELi2ELi4ELi4ELi1ENSI_IJLi8ELi2EEEES13_NSI_IJLi2ELi1ELi4ELi2EEEENSI_IJLi8ELi1ELi32ELi1EEEENSI_IJLi0ELi3ELi1ELi2EEEES16_NSI_IJLi1ELi1ELi4ELi1EEEES16_NSI_IJLi1ELi1ELi4ELi2EEEES14_S15_S16_S16_S17_S16_S18_NSI_IJLi0ELi1ELi2ELi3ELi4ELi5EEEELi5ELi4EEEDF16_DF16_NS3_INS4_IJSA_SE_SG_SG_NSB_INS4_IJiNS7_IiLi128EEEEEELb0EEENSF_ISC_EEEEENS4_IJSJ_SK_SL_SZ_SP_S10_EEENS4_IJSN_SO_SP_NSI_IJLi6EEEENSI_IJLi7ELi8EEEENSI_IJLi9EEEEEEENSI_IJLi6ELi7ELi8ELi9EEEElEENS3_INS4_IJSU_SE_SG_SG_S1D_S1E_EEENS4_IJSJ_SL_SK_SZ_SP_S10_EEES1K_S1L_lEENS3_INS4_IJSU_SG_SG_NSB_INS4_IJiSC_NS7_IiLi64EEEEEELb0EEES1S_EEENS4_IJSJ_SL_SK_SZ_S10_EEENS4_IJSN_SZ_S10_NSI_IJLi5ELi6ELi7EEEENSI_IJLi8ELi9ELi10EEEEEEENSI_IJLi5ELi6ELi7ELi8ELi9ELi10EEEElEENS_31BlockToCTileMap_M00_N00_M01_N01ILi128ELi128ES12_Lb0EEELb1ELb0EEEvPKT0_S24_PT1_T2_T3_T4_T5_.has_indirect_call, 0
	.section	.AMDGPU.csdata,"",@progbits
; Kernel info:
; codeLenInByte = 29732
; TotalNumSgprs: 39
; NumVgprs: 198
; ScratchSize: 0
; MemoryBound: 0
; FloatMode: 240
; IeeeMode: 1
; LDSByteSize: 32768 bytes/workgroup (compile time only)
; SGPRBlocks: 0
; VGPRBlocks: 24
; NumSGPRsForWavesPerEU: 39
; NumVGPRsForWavesPerEU: 198
; Occupancy: 7
; WaveLimiterHint : 0
; COMPUTE_PGM_RSRC2:SCRATCH_EN: 0
; COMPUTE_PGM_RSRC2:USER_SGPR: 2
; COMPUTE_PGM_RSRC2:TRAP_HANDLER: 0
; COMPUTE_PGM_RSRC2:TGID_X_EN: 1
; COMPUTE_PGM_RSRC2:TGID_Y_EN: 0
; COMPUTE_PGM_RSRC2:TGID_Z_EN: 0
; COMPUTE_PGM_RSRC2:TIDIG_COMP_CNT: 0
	.section	.text._ZN2ck19kernel_gemm_dl_v1r3INS_28GridwiseGemmDl_km_kn_mn_v1r3ILi256EDF16_fDF16_LNS_25InMemoryDataOperationEnumE0ENS_16TensorDescriptorINS_5TupleIJNS_5EmbedINS4_IJiiEEENS4_IJNS_17integral_constantIiLi1EEEiEEELb0EEENS_7UnMergeINS4_IJiNS7_IiLi2EEEEEELb0EEENS_11PassThroughIiEEEEENS4_IJNS_8SequenceIJLi0EEEENSI_IJLi2EEEENSI_IJLi1EEEEEEENS4_IJNSI_IJLi1ELi2EEEENSI_IJLi3ELi4EEEENSI_IJLi5EEEEEEENSI_IJLi3ELi5ELi4EEEElEENS3_INS4_IJNS5_IS6_NS4_IJiS8_EEELb0EEESE_SG_EEENS4_IJSJ_SL_SK_EEESQ_SR_lEENS3_INS4_IJSU_SG_SG_EEESW_NS4_IJSN_NSI_IJLi3EEEENSI_IJLi4EEEEEEESO_lEELi128ELi128ELi16ELi2ELi4ELi4ELi1ENSI_IJLi8ELi2EEEES13_NSI_IJLi2ELi1ELi4ELi2EEEENSI_IJLi8ELi1ELi32ELi1EEEENSI_IJLi0ELi3ELi1ELi2EEEES16_NSI_IJLi1ELi1ELi4ELi1EEEES16_NSI_IJLi1ELi1ELi4ELi2EEEES14_S15_S16_S16_S17_S16_S18_NSI_IJLi0ELi1ELi2ELi3ELi4ELi5EEEELi5ELi4EEEDF16_DF16_NS3_INS4_IJSA_SE_SG_SG_NSB_INS4_IJiNS7_IiLi128EEEEEELb0EEENSF_ISC_EEEEENS4_IJSJ_SK_SL_SZ_SP_S10_EEENS4_IJSN_SO_SP_NSI_IJLi6EEEENSI_IJLi7ELi8EEEENSI_IJLi9EEEEEEENSI_IJLi6ELi7ELi8ELi9EEEElEENS3_INS4_IJSU_SE_SG_SG_S1D_S1E_EEENS4_IJSJ_SL_SK_SZ_SP_S10_EEES1K_S1L_lEENS3_INS4_IJSU_SG_SG_NSB_INS4_IJiSC_NS7_IiLi64EEEEEELb0EEES1S_EEENS4_IJSJ_SL_SK_SZ_S10_EEENS4_IJSN_SZ_S10_NSI_IJLi5ELi6ELi7EEEENSI_IJLi8ELi9ELi10EEEEEEENSI_IJLi5ELi6ELi7ELi8ELi9ELi10EEEElEENS_31BlockToCTileMap_M00_N00_M01_N01ILi128ELi128ES12_Lb0EEELb0ELb1EEEvPKT0_S24_PT1_T2_T3_T4_T5_,"axG",@progbits,_ZN2ck19kernel_gemm_dl_v1r3INS_28GridwiseGemmDl_km_kn_mn_v1r3ILi256EDF16_fDF16_LNS_25InMemoryDataOperationEnumE0ENS_16TensorDescriptorINS_5TupleIJNS_5EmbedINS4_IJiiEEENS4_IJNS_17integral_constantIiLi1EEEiEEELb0EEENS_7UnMergeINS4_IJiNS7_IiLi2EEEEEELb0EEENS_11PassThroughIiEEEEENS4_IJNS_8SequenceIJLi0EEEENSI_IJLi2EEEENSI_IJLi1EEEEEEENS4_IJNSI_IJLi1ELi2EEEENSI_IJLi3ELi4EEEENSI_IJLi5EEEEEEENSI_IJLi3ELi5ELi4EEEElEENS3_INS4_IJNS5_IS6_NS4_IJiS8_EEELb0EEESE_SG_EEENS4_IJSJ_SL_SK_EEESQ_SR_lEENS3_INS4_IJSU_SG_SG_EEESW_NS4_IJSN_NSI_IJLi3EEEENSI_IJLi4EEEEEEESO_lEELi128ELi128ELi16ELi2ELi4ELi4ELi1ENSI_IJLi8ELi2EEEES13_NSI_IJLi2ELi1ELi4ELi2EEEENSI_IJLi8ELi1ELi32ELi1EEEENSI_IJLi0ELi3ELi1ELi2EEEES16_NSI_IJLi1ELi1ELi4ELi1EEEES16_NSI_IJLi1ELi1ELi4ELi2EEEES14_S15_S16_S16_S17_S16_S18_NSI_IJLi0ELi1ELi2ELi3ELi4ELi5EEEELi5ELi4EEEDF16_DF16_NS3_INS4_IJSA_SE_SG_SG_NSB_INS4_IJiNS7_IiLi128EEEEEELb0EEENSF_ISC_EEEEENS4_IJSJ_SK_SL_SZ_SP_S10_EEENS4_IJSN_SO_SP_NSI_IJLi6EEEENSI_IJLi7ELi8EEEENSI_IJLi9EEEEEEENSI_IJLi6ELi7ELi8ELi9EEEElEENS3_INS4_IJSU_SE_SG_SG_S1D_S1E_EEENS4_IJSJ_SL_SK_SZ_SP_S10_EEES1K_S1L_lEENS3_INS4_IJSU_SG_SG_NSB_INS4_IJiSC_NS7_IiLi64EEEEEELb0EEES1S_EEENS4_IJSJ_SL_SK_SZ_S10_EEENS4_IJSN_SZ_S10_NSI_IJLi5ELi6ELi7EEEENSI_IJLi8ELi9ELi10EEEEEEENSI_IJLi5ELi6ELi7ELi8ELi9ELi10EEEElEENS_31BlockToCTileMap_M00_N00_M01_N01ILi128ELi128ES12_Lb0EEELb0ELb1EEEvPKT0_S24_PT1_T2_T3_T4_T5_,comdat
	.protected	_ZN2ck19kernel_gemm_dl_v1r3INS_28GridwiseGemmDl_km_kn_mn_v1r3ILi256EDF16_fDF16_LNS_25InMemoryDataOperationEnumE0ENS_16TensorDescriptorINS_5TupleIJNS_5EmbedINS4_IJiiEEENS4_IJNS_17integral_constantIiLi1EEEiEEELb0EEENS_7UnMergeINS4_IJiNS7_IiLi2EEEEEELb0EEENS_11PassThroughIiEEEEENS4_IJNS_8SequenceIJLi0EEEENSI_IJLi2EEEENSI_IJLi1EEEEEEENS4_IJNSI_IJLi1ELi2EEEENSI_IJLi3ELi4EEEENSI_IJLi5EEEEEEENSI_IJLi3ELi5ELi4EEEElEENS3_INS4_IJNS5_IS6_NS4_IJiS8_EEELb0EEESE_SG_EEENS4_IJSJ_SL_SK_EEESQ_SR_lEENS3_INS4_IJSU_SG_SG_EEESW_NS4_IJSN_NSI_IJLi3EEEENSI_IJLi4EEEEEEESO_lEELi128ELi128ELi16ELi2ELi4ELi4ELi1ENSI_IJLi8ELi2EEEES13_NSI_IJLi2ELi1ELi4ELi2EEEENSI_IJLi8ELi1ELi32ELi1EEEENSI_IJLi0ELi3ELi1ELi2EEEES16_NSI_IJLi1ELi1ELi4ELi1EEEES16_NSI_IJLi1ELi1ELi4ELi2EEEES14_S15_S16_S16_S17_S16_S18_NSI_IJLi0ELi1ELi2ELi3ELi4ELi5EEEELi5ELi4EEEDF16_DF16_NS3_INS4_IJSA_SE_SG_SG_NSB_INS4_IJiNS7_IiLi128EEEEEELb0EEENSF_ISC_EEEEENS4_IJSJ_SK_SL_SZ_SP_S10_EEENS4_IJSN_SO_SP_NSI_IJLi6EEEENSI_IJLi7ELi8EEEENSI_IJLi9EEEEEEENSI_IJLi6ELi7ELi8ELi9EEEElEENS3_INS4_IJSU_SE_SG_SG_S1D_S1E_EEENS4_IJSJ_SL_SK_SZ_SP_S10_EEES1K_S1L_lEENS3_INS4_IJSU_SG_SG_NSB_INS4_IJiSC_NS7_IiLi64EEEEEELb0EEES1S_EEENS4_IJSJ_SL_SK_SZ_S10_EEENS4_IJSN_SZ_S10_NSI_IJLi5ELi6ELi7EEEENSI_IJLi8ELi9ELi10EEEEEEENSI_IJLi5ELi6ELi7ELi8ELi9ELi10EEEElEENS_31BlockToCTileMap_M00_N00_M01_N01ILi128ELi128ES12_Lb0EEELb0ELb1EEEvPKT0_S24_PT1_T2_T3_T4_T5_ ; -- Begin function _ZN2ck19kernel_gemm_dl_v1r3INS_28GridwiseGemmDl_km_kn_mn_v1r3ILi256EDF16_fDF16_LNS_25InMemoryDataOperationEnumE0ENS_16TensorDescriptorINS_5TupleIJNS_5EmbedINS4_IJiiEEENS4_IJNS_17integral_constantIiLi1EEEiEEELb0EEENS_7UnMergeINS4_IJiNS7_IiLi2EEEEEELb0EEENS_11PassThroughIiEEEEENS4_IJNS_8SequenceIJLi0EEEENSI_IJLi2EEEENSI_IJLi1EEEEEEENS4_IJNSI_IJLi1ELi2EEEENSI_IJLi3ELi4EEEENSI_IJLi5EEEEEEENSI_IJLi3ELi5ELi4EEEElEENS3_INS4_IJNS5_IS6_NS4_IJiS8_EEELb0EEESE_SG_EEENS4_IJSJ_SL_SK_EEESQ_SR_lEENS3_INS4_IJSU_SG_SG_EEESW_NS4_IJSN_NSI_IJLi3EEEENSI_IJLi4EEEEEEESO_lEELi128ELi128ELi16ELi2ELi4ELi4ELi1ENSI_IJLi8ELi2EEEES13_NSI_IJLi2ELi1ELi4ELi2EEEENSI_IJLi8ELi1ELi32ELi1EEEENSI_IJLi0ELi3ELi1ELi2EEEES16_NSI_IJLi1ELi1ELi4ELi1EEEES16_NSI_IJLi1ELi1ELi4ELi2EEEES14_S15_S16_S16_S17_S16_S18_NSI_IJLi0ELi1ELi2ELi3ELi4ELi5EEEELi5ELi4EEEDF16_DF16_NS3_INS4_IJSA_SE_SG_SG_NSB_INS4_IJiNS7_IiLi128EEEEEELb0EEENSF_ISC_EEEEENS4_IJSJ_SK_SL_SZ_SP_S10_EEENS4_IJSN_SO_SP_NSI_IJLi6EEEENSI_IJLi7ELi8EEEENSI_IJLi9EEEEEEENSI_IJLi6ELi7ELi8ELi9EEEElEENS3_INS4_IJSU_SE_SG_SG_S1D_S1E_EEENS4_IJSJ_SL_SK_SZ_SP_S10_EEES1K_S1L_lEENS3_INS4_IJSU_SG_SG_NSB_INS4_IJiSC_NS7_IiLi64EEEEEELb0EEES1S_EEENS4_IJSJ_SL_SK_SZ_S10_EEENS4_IJSN_SZ_S10_NSI_IJLi5ELi6ELi7EEEENSI_IJLi8ELi9ELi10EEEEEEENSI_IJLi5ELi6ELi7ELi8ELi9ELi10EEEElEENS_31BlockToCTileMap_M00_N00_M01_N01ILi128ELi128ES12_Lb0EEELb0ELb1EEEvPKT0_S24_PT1_T2_T3_T4_T5_
	.globl	_ZN2ck19kernel_gemm_dl_v1r3INS_28GridwiseGemmDl_km_kn_mn_v1r3ILi256EDF16_fDF16_LNS_25InMemoryDataOperationEnumE0ENS_16TensorDescriptorINS_5TupleIJNS_5EmbedINS4_IJiiEEENS4_IJNS_17integral_constantIiLi1EEEiEEELb0EEENS_7UnMergeINS4_IJiNS7_IiLi2EEEEEELb0EEENS_11PassThroughIiEEEEENS4_IJNS_8SequenceIJLi0EEEENSI_IJLi2EEEENSI_IJLi1EEEEEEENS4_IJNSI_IJLi1ELi2EEEENSI_IJLi3ELi4EEEENSI_IJLi5EEEEEEENSI_IJLi3ELi5ELi4EEEElEENS3_INS4_IJNS5_IS6_NS4_IJiS8_EEELb0EEESE_SG_EEENS4_IJSJ_SL_SK_EEESQ_SR_lEENS3_INS4_IJSU_SG_SG_EEESW_NS4_IJSN_NSI_IJLi3EEEENSI_IJLi4EEEEEEESO_lEELi128ELi128ELi16ELi2ELi4ELi4ELi1ENSI_IJLi8ELi2EEEES13_NSI_IJLi2ELi1ELi4ELi2EEEENSI_IJLi8ELi1ELi32ELi1EEEENSI_IJLi0ELi3ELi1ELi2EEEES16_NSI_IJLi1ELi1ELi4ELi1EEEES16_NSI_IJLi1ELi1ELi4ELi2EEEES14_S15_S16_S16_S17_S16_S18_NSI_IJLi0ELi1ELi2ELi3ELi4ELi5EEEELi5ELi4EEEDF16_DF16_NS3_INS4_IJSA_SE_SG_SG_NSB_INS4_IJiNS7_IiLi128EEEEEELb0EEENSF_ISC_EEEEENS4_IJSJ_SK_SL_SZ_SP_S10_EEENS4_IJSN_SO_SP_NSI_IJLi6EEEENSI_IJLi7ELi8EEEENSI_IJLi9EEEEEEENSI_IJLi6ELi7ELi8ELi9EEEElEENS3_INS4_IJSU_SE_SG_SG_S1D_S1E_EEENS4_IJSJ_SL_SK_SZ_SP_S10_EEES1K_S1L_lEENS3_INS4_IJSU_SG_SG_NSB_INS4_IJiSC_NS7_IiLi64EEEEEELb0EEES1S_EEENS4_IJSJ_SL_SK_SZ_S10_EEENS4_IJSN_SZ_S10_NSI_IJLi5ELi6ELi7EEEENSI_IJLi8ELi9ELi10EEEEEEENSI_IJLi5ELi6ELi7ELi8ELi9ELi10EEEElEENS_31BlockToCTileMap_M00_N00_M01_N01ILi128ELi128ES12_Lb0EEELb0ELb1EEEvPKT0_S24_PT1_T2_T3_T4_T5_
	.p2align	8
	.type	_ZN2ck19kernel_gemm_dl_v1r3INS_28GridwiseGemmDl_km_kn_mn_v1r3ILi256EDF16_fDF16_LNS_25InMemoryDataOperationEnumE0ENS_16TensorDescriptorINS_5TupleIJNS_5EmbedINS4_IJiiEEENS4_IJNS_17integral_constantIiLi1EEEiEEELb0EEENS_7UnMergeINS4_IJiNS7_IiLi2EEEEEELb0EEENS_11PassThroughIiEEEEENS4_IJNS_8SequenceIJLi0EEEENSI_IJLi2EEEENSI_IJLi1EEEEEEENS4_IJNSI_IJLi1ELi2EEEENSI_IJLi3ELi4EEEENSI_IJLi5EEEEEEENSI_IJLi3ELi5ELi4EEEElEENS3_INS4_IJNS5_IS6_NS4_IJiS8_EEELb0EEESE_SG_EEENS4_IJSJ_SL_SK_EEESQ_SR_lEENS3_INS4_IJSU_SG_SG_EEESW_NS4_IJSN_NSI_IJLi3EEEENSI_IJLi4EEEEEEESO_lEELi128ELi128ELi16ELi2ELi4ELi4ELi1ENSI_IJLi8ELi2EEEES13_NSI_IJLi2ELi1ELi4ELi2EEEENSI_IJLi8ELi1ELi32ELi1EEEENSI_IJLi0ELi3ELi1ELi2EEEES16_NSI_IJLi1ELi1ELi4ELi1EEEES16_NSI_IJLi1ELi1ELi4ELi2EEEES14_S15_S16_S16_S17_S16_S18_NSI_IJLi0ELi1ELi2ELi3ELi4ELi5EEEELi5ELi4EEEDF16_DF16_NS3_INS4_IJSA_SE_SG_SG_NSB_INS4_IJiNS7_IiLi128EEEEEELb0EEENSF_ISC_EEEEENS4_IJSJ_SK_SL_SZ_SP_S10_EEENS4_IJSN_SO_SP_NSI_IJLi6EEEENSI_IJLi7ELi8EEEENSI_IJLi9EEEEEEENSI_IJLi6ELi7ELi8ELi9EEEElEENS3_INS4_IJSU_SE_SG_SG_S1D_S1E_EEENS4_IJSJ_SL_SK_SZ_SP_S10_EEES1K_S1L_lEENS3_INS4_IJSU_SG_SG_NSB_INS4_IJiSC_NS7_IiLi64EEEEEELb0EEES1S_EEENS4_IJSJ_SL_SK_SZ_S10_EEENS4_IJSN_SZ_S10_NSI_IJLi5ELi6ELi7EEEENSI_IJLi8ELi9ELi10EEEEEEENSI_IJLi5ELi6ELi7ELi8ELi9ELi10EEEElEENS_31BlockToCTileMap_M00_N00_M01_N01ILi128ELi128ES12_Lb0EEELb0ELb1EEEvPKT0_S24_PT1_T2_T3_T4_T5_,@function
_ZN2ck19kernel_gemm_dl_v1r3INS_28GridwiseGemmDl_km_kn_mn_v1r3ILi256EDF16_fDF16_LNS_25InMemoryDataOperationEnumE0ENS_16TensorDescriptorINS_5TupleIJNS_5EmbedINS4_IJiiEEENS4_IJNS_17integral_constantIiLi1EEEiEEELb0EEENS_7UnMergeINS4_IJiNS7_IiLi2EEEEEELb0EEENS_11PassThroughIiEEEEENS4_IJNS_8SequenceIJLi0EEEENSI_IJLi2EEEENSI_IJLi1EEEEEEENS4_IJNSI_IJLi1ELi2EEEENSI_IJLi3ELi4EEEENSI_IJLi5EEEEEEENSI_IJLi3ELi5ELi4EEEElEENS3_INS4_IJNS5_IS6_NS4_IJiS8_EEELb0EEESE_SG_EEENS4_IJSJ_SL_SK_EEESQ_SR_lEENS3_INS4_IJSU_SG_SG_EEESW_NS4_IJSN_NSI_IJLi3EEEENSI_IJLi4EEEEEEESO_lEELi128ELi128ELi16ELi2ELi4ELi4ELi1ENSI_IJLi8ELi2EEEES13_NSI_IJLi2ELi1ELi4ELi2EEEENSI_IJLi8ELi1ELi32ELi1EEEENSI_IJLi0ELi3ELi1ELi2EEEES16_NSI_IJLi1ELi1ELi4ELi1EEEES16_NSI_IJLi1ELi1ELi4ELi2EEEES14_S15_S16_S16_S17_S16_S18_NSI_IJLi0ELi1ELi2ELi3ELi4ELi5EEEELi5ELi4EEEDF16_DF16_NS3_INS4_IJSA_SE_SG_SG_NSB_INS4_IJiNS7_IiLi128EEEEEELb0EEENSF_ISC_EEEEENS4_IJSJ_SK_SL_SZ_SP_S10_EEENS4_IJSN_SO_SP_NSI_IJLi6EEEENSI_IJLi7ELi8EEEENSI_IJLi9EEEEEEENSI_IJLi6ELi7ELi8ELi9EEEElEENS3_INS4_IJSU_SE_SG_SG_S1D_S1E_EEENS4_IJSJ_SL_SK_SZ_SP_S10_EEES1K_S1L_lEENS3_INS4_IJSU_SG_SG_NSB_INS4_IJiSC_NS7_IiLi64EEEEEELb0EEES1S_EEENS4_IJSJ_SL_SK_SZ_S10_EEENS4_IJSN_SZ_S10_NSI_IJLi5ELi6ELi7EEEENSI_IJLi8ELi9ELi10EEEEEEENSI_IJLi5ELi6ELi7ELi8ELi9ELi10EEEElEENS_31BlockToCTileMap_M00_N00_M01_N01ILi128ELi128ES12_Lb0EEELb0ELb1EEEvPKT0_S24_PT1_T2_T3_T4_T5_: ; @_ZN2ck19kernel_gemm_dl_v1r3INS_28GridwiseGemmDl_km_kn_mn_v1r3ILi256EDF16_fDF16_LNS_25InMemoryDataOperationEnumE0ENS_16TensorDescriptorINS_5TupleIJNS_5EmbedINS4_IJiiEEENS4_IJNS_17integral_constantIiLi1EEEiEEELb0EEENS_7UnMergeINS4_IJiNS7_IiLi2EEEEEELb0EEENS_11PassThroughIiEEEEENS4_IJNS_8SequenceIJLi0EEEENSI_IJLi2EEEENSI_IJLi1EEEEEEENS4_IJNSI_IJLi1ELi2EEEENSI_IJLi3ELi4EEEENSI_IJLi5EEEEEEENSI_IJLi3ELi5ELi4EEEElEENS3_INS4_IJNS5_IS6_NS4_IJiS8_EEELb0EEESE_SG_EEENS4_IJSJ_SL_SK_EEESQ_SR_lEENS3_INS4_IJSU_SG_SG_EEESW_NS4_IJSN_NSI_IJLi3EEEENSI_IJLi4EEEEEEESO_lEELi128ELi128ELi16ELi2ELi4ELi4ELi1ENSI_IJLi8ELi2EEEES13_NSI_IJLi2ELi1ELi4ELi2EEEENSI_IJLi8ELi1ELi32ELi1EEEENSI_IJLi0ELi3ELi1ELi2EEEES16_NSI_IJLi1ELi1ELi4ELi1EEEES16_NSI_IJLi1ELi1ELi4ELi2EEEES14_S15_S16_S16_S17_S16_S18_NSI_IJLi0ELi1ELi2ELi3ELi4ELi5EEEELi5ELi4EEEDF16_DF16_NS3_INS4_IJSA_SE_SG_SG_NSB_INS4_IJiNS7_IiLi128EEEEEELb0EEENSF_ISC_EEEEENS4_IJSJ_SK_SL_SZ_SP_S10_EEENS4_IJSN_SO_SP_NSI_IJLi6EEEENSI_IJLi7ELi8EEEENSI_IJLi9EEEEEEENSI_IJLi6ELi7ELi8ELi9EEEElEENS3_INS4_IJSU_SE_SG_SG_S1D_S1E_EEENS4_IJSJ_SL_SK_SZ_SP_S10_EEES1K_S1L_lEENS3_INS4_IJSU_SG_SG_NSB_INS4_IJiSC_NS7_IiLi64EEEEEELb0EEES1S_EEENS4_IJSJ_SL_SK_SZ_S10_EEENS4_IJSN_SZ_S10_NSI_IJLi5ELi6ELi7EEEENSI_IJLi8ELi9ELi10EEEEEEENSI_IJLi5ELi6ELi7ELi8ELi9ELi10EEEElEENS_31BlockToCTileMap_M00_N00_M01_N01ILi128ELi128ES12_Lb0EEELb0ELb1EEEvPKT0_S24_PT1_T2_T3_T4_T5_
; %bb.0:
	s_clause 0xc
	s_load_b128 s[8:11], s[0:1], 0x11c
	s_load_b32 s25, s[0:1], 0x24
	s_load_b32 s26, s[0:1], 0x60
	;; [unrolled: 1-line block ×3, first 2 shown]
	s_load_b128 s[20:23], s[0:1], 0x130
	s_load_b128 s[12:15], s[0:1], 0x0
	;; [unrolled: 1-line block ×3, first 2 shown]
	s_load_b64 s[4:5], s[0:1], 0x10
	s_load_b32 s7, s[0:1], 0x90
	s_load_b32 s24, s[0:1], 0xa0
	;; [unrolled: 1-line block ×5, first 2 shown]
	v_lshrrev_b32_e32 v1, 4, v0
	v_lshlrev_b32_e32 v2, 2, v0
	s_mov_b32 s3, 0x31004000
	v_lshrrev_b32_e32 v24, 5, v0
	v_lshlrev_b32_e32 v0, 1, v0
	v_and_b32_e32 v1, 14, v1
	v_and_b32_e32 v20, 0x7c, v2
	s_delay_alu instid0(VALU_DEP_4) | instskip(SKIP_1) | instid1(VALU_DEP_4)
	v_lshlrev_b32_e32 v25, 6, v24
	v_lshlrev_b32_e32 v24, 3, v24
	;; [unrolled: 1-line block ×3, first 2 shown]
	v_and_b32_e32 v26, 0x1f8, v0
	s_wait_kmcnt 0x0
	s_mul_hi_u32 s0, s11, ttmp9
	v_and_or_b32 v104, v0, 4, v24
	s_add_co_i32 s0, ttmp9, s0
	v_mul_lo_u32 v4, s25, v3
	s_lshr_b32 s11, s0, s23
	s_mov_b32 s0, s12
	s_mul_hi_u32 s10, s11, s10
	v_mul_lo_u32 v3, s26, v3
	s_add_co_i32 s10, s11, s10
	s_and_b32 s1, s13, 0xffff
	s_lshr_b32 s12, s10, s22
	s_lshl_b32 s10, s7, 1
	s_mul_hi_u32 s7, s12, s9
	s_mul_i32 s9, s11, s19
	s_add_co_i32 s7, s12, s7
	s_mul_i32 s18, s12, s18
	s_lshr_b32 s7, s7, s21
	s_sub_co_i32 s9, ttmp9, s9
	s_mul_hi_u32 s8, s7, s8
	s_mul_i32 s17, s7, s17
	s_add_co_i32 s8, s7, s8
	s_sub_co_i32 s12, s12, s17
	s_lshr_b32 s8, s8, s20
	s_mul_i32 s12, s12, s28
	s_mul_i32 s8, s8, s16
	s_add_co_i32 s9, s9, s12
	s_sub_co_i32 s7, s7, s8
	s_sub_co_i32 s11, s11, s18
	s_mul_i32 s8, s7, s27
	s_lshl_b32 s7, s9, 7
	s_add_co_i32 s11, s11, s8
	v_add3_u32 v3, v3, v20, s7
	s_lshl_b32 s12, s11, 7
	s_mov_b32 s8, s14
	v_add3_u32 v8, v4, v20, s12
	s_lshl_b32 s14, s26, 1
	v_add_nc_u32_e32 v4, s26, v3
	v_lshlrev_b32_e32 v5, 1, v3
	v_add_nc_u32_e32 v3, s14, v3
	v_add_nc_u32_e32 v9, s25, v8
	s_lshl_b32 s13, s25, 1
	v_add_nc_u32_e32 v21, s14, v4
	v_lshlrev_b32_e32 v6, 1, v4
	s_wait_alu 0xfffe
	v_add_nc_u32_e32 v23, s13, v8
	v_add_nc_u32_e32 v22, s13, v9
	v_lshlrev_b32_e32 v11, 1, v3
	v_lshlrev_b32_e32 v10, 1, v21
	s_and_b32 s9, s15, 0xffff
	v_lshlrev_b32_e32 v12, 1, v8
	s_mov_b32 s11, s3
	v_lshlrev_b32_e32 v14, 1, v9
	s_clause 0x1
	buffer_load_b64 v[4:5], v5, s[8:11], null offen
	buffer_load_b64 v[6:7], v6, s[8:11], null offen
	v_lshlrev_b32_e32 v16, 1, v22
	s_lshl_b32 s2, s2, 1
	s_clause 0x1
	buffer_load_b64 v[8:9], v10, s[8:11], null offen
	buffer_load_b64 v[10:11], v11, s[8:11], null offen
	v_lshlrev_b32_e32 v18, 1, v23
	s_clause 0x3
	buffer_load_b64 v[12:13], v12, s[0:3], null offen
	buffer_load_b64 v[14:15], v14, s[0:3], null offen
	;; [unrolled: 1-line block ×4, first 2 shown]
	v_lshlrev_b32_e32 v0, 2, v20
	s_mul_i32 s15, s26, 30
	s_mul_i32 s16, s25, 30
	s_wait_alu 0xfffe
	v_add_nc_u32_e32 v20, s15, v21
	v_sub_nc_u32_e32 v25, v26, v25
	v_lshl_or_b32 v108, v1, 9, v0
	v_add_nc_u32_e32 v1, s16, v22
	v_add_lshl_u32 v21, v3, s15, 1
	v_add_nc_u32_e32 v0, s14, v20
	v_and_or_b32 v105, v2, 4, v25
	v_add_lshl_u32 v22, v23, s16, 1
	v_add_nc_u32_e32 v3, s13, v1
	v_lshlrev_b32_e32 v24, 1, v1
	v_subrev_nc_u32_e32 v2, s26, v0
	v_lshlrev_b32_e32 v23, 1, v0
	v_lshlrev_b32_e32 v20, 1, v20
	v_subrev_nc_u32_e32 v27, s25, v3
	v_lshlrev_b32_e32 v26, 1, v3
	v_lshlrev_b32_e32 v25, 1, v2
	;; [unrolled: 1-line block ×4, first 2 shown]
	s_lshl_b32 s6, s6, 1
	s_and_b32 s5, s5, 0xffff
	s_wait_loadcnt 0x6
	v_perm_b32 v3, v7, v5, 0x7060302
	v_perm_b32 v1, v6, v4, 0x7060302
	v_perm_b32 v0, v6, v4, 0x5040100
	v_perm_b32 v2, v7, v5, 0x5040100
	s_wait_loadcnt 0x4
	v_perm_b32 v7, v9, v11, 0x7060302
	v_perm_b32 v5, v8, v10, 0x7060302
	v_perm_b32 v4, v8, v10, 0x5040100
	v_perm_b32 v6, v9, v11, 0x5040100
	s_wait_loadcnt 0x2
	v_perm_b32 v11, v15, v13, 0x7060302
	v_perm_b32 v9, v14, v12, 0x7060302
	v_perm_b32 v8, v14, v12, 0x5040100
	v_perm_b32 v10, v15, v13, 0x5040100
	s_wait_loadcnt 0x0
	v_perm_b32 v15, v17, v19, 0x7060302
	v_perm_b32 v13, v16, v18, 0x7060302
	v_perm_b32 v12, v16, v18, 0x5040100
	v_perm_b32 v14, v17, v19, 0x5040100
	v_lshlrev_b32_e32 v16, 1, v27
	ds_store_b128 v108, v[0:3] offset:16384
	ds_store_b128 v108, v[4:7] offset:16896
	ds_store_b128 v108, v[8:11]
	ds_store_b128 v108, v[12:15] offset:512
	s_wait_dscnt 0x0
	s_barrier_signal -1
	s_barrier_wait -1
	s_clause 0x3
	buffer_load_b64 v[100:101], v22, s[0:3], null offen
	buffer_load_b64 v[102:103], v24, s[0:3], null offen
	;; [unrolled: 1-line block ×4, first 2 shown]
	s_clause 0x3
	buffer_load_b64 v[92:93], v21, s[8:11], null offen
	buffer_load_b64 v[94:95], v20, s[8:11], null offen
	;; [unrolled: 1-line block ×4, first 2 shown]
	ds_load_b128 v[109:112], v107 offset:16384
	ds_load_b128 v[113:116], v107 offset:16640
	ds_load_b128 v[117:120], v106
	ds_load_b128 v[121:124], v106 offset:256
	ds_load_b128 v[76:79], v107 offset:16896
	;; [unrolled: 1-line block ×25, first 2 shown]
	s_wait_dscnt 0x19
	v_dot2_f32_f16 v133, v117, v109, 0
	v_dot2_f32_f16 v134, v117, v110, 0
	v_dot2_f32_f16 v135, v117, v111, 0
	v_dot2_f32_f16 v136, v117, v112, 0
	v_dot2_f32_f16 v137, v118, v109, 0
	v_dot2_f32_f16 v138, v118, v110, 0
	v_dot2_f32_f16 v139, v118, v111, 0
	v_dot2_f32_f16 v140, v118, v112, 0
	v_dot2_f32_f16 v141, v119, v109, 0
	v_dot2_f32_f16 v142, v119, v110, 0
	v_dot2_f32_f16 v143, v119, v111, 0
	v_dot2_f32_f16 v144, v119, v112, 0
	v_dot2_f32_f16 v145, v120, v109, 0
	v_dot2_f32_f16 v146, v120, v110, 0
	v_dot2_f32_f16 v147, v120, v111, 0
	v_dot2_f32_f16 v148, v120, v112, 0
	v_dot2_f32_f16 v149, v117, v113, 0
	v_dot2_f32_f16 v150, v117, v114, 0
	v_dot2_f32_f16 v151, v117, v115, 0
	v_dot2_f32_f16 v117, v117, v116, 0
	v_dot2_f32_f16 v152, v118, v113, 0
	v_dot2_f32_f16 v153, v118, v114, 0
	v_dot2_f32_f16 v154, v118, v115, 0
	v_dot2_f32_f16 v118, v118, v116, 0
	v_dot2_f32_f16 v155, v119, v113, 0
	v_dot2_f32_f16 v156, v119, v114, 0
	v_dot2_f32_f16 v157, v119, v115, 0
	v_dot2_f32_f16 v119, v119, v116, 0
	v_dot2_f32_f16 v158, v120, v113, 0
	v_dot2_f32_f16 v159, v120, v114, 0
	v_dot2_f32_f16 v160, v120, v115, 0
	v_dot2_f32_f16 v120, v120, v116, 0
	s_wait_dscnt 0x18
	v_dot2_f32_f16 v161, v121, v109, 0
	v_dot2_f32_f16 v162, v121, v110, 0
	v_dot2_f32_f16 v163, v121, v111, 0
	v_dot2_f32_f16 v164, v121, v112, 0
	v_dot2_f32_f16 v165, v122, v109, 0
	v_dot2_f32_f16 v166, v122, v110, 0
	v_dot2_f32_f16 v167, v122, v111, 0
	v_dot2_f32_f16 v168, v122, v112, 0
	v_dot2_f32_f16 v169, v123, v109, 0
	v_dot2_f32_f16 v170, v123, v110, 0
	v_dot2_f32_f16 v171, v123, v111, 0
	v_dot2_f32_f16 v172, v123, v112, 0
	v_dot2_f32_f16 v173, v124, v109, 0
	v_dot2_f32_f16 v174, v124, v110, 0
	v_dot2_f32_f16 v175, v124, v111, 0
	v_dot2_f32_f16 v176, v124, v112, 0
	v_dot2_f32_f16 v177, v121, v113, 0
	v_dot2_f32_f16 v178, v121, v114, 0
	v_dot2_f32_f16 v180, v122, v113, 0
	v_dot2_f32_f16 v181, v122, v114, 0
	v_dot2_f32_f16 v182, v122, v115, 0
	v_dot2_f32_f16 v184, v123, v114, 0
	v_dot2_f32_f16 v185, v123, v115, 0
	v_dot2_f32_f16 v179, v121, v115, 0
	v_dot2_f32_f16 v121, v121, v116, 0
	v_dot2_f32_f16 v122, v122, v116, 0
	v_dot2_f32_f16 v183, v123, v113, 0
	v_dot2_f32_f16 v123, v123, v116, 0
	v_dot2_f32_f16 v186, v124, v113, 0
	v_dot2_f32_f16 v187, v124, v114, 0
	v_dot2_f32_f16 v188, v124, v115, 0
	v_dot2_f32_f16 v124, v124, v116, 0
	;; [unrolled: 33-line block ×5, first 2 shown]
	s_wait_dscnt 0x10
	v_dot2_f32_f16 v188, v8, v0, v128
	v_dot2_f32_f16 v158, v8, v1, v158
	;; [unrolled: 1-line block ×23, first 2 shown]
	ds_load_b128 v[109:112], v107 offset:19968
	ds_load_b128 v[113:116], v107 offset:20224
	;; [unrolled: 1-line block ×4, first 2 shown]
	v_dot2_f32_f16 v171, v8, v6, v175
	v_dot2_f32_f16 v8, v8, v7, v121
	;; [unrolled: 1-line block ×9, first 2 shown]
	s_wait_dscnt 0x11
	v_dot2_f32_f16 v11, v60, v12, v133
	v_dot2_f32_f16 v133, v60, v13, v134
	;; [unrolled: 1-line block ×32, first 2 shown]
	s_wait_dscnt 0x10
	v_dot2_f32_f16 v132, v20, v12, v188
	v_dot2_f32_f16 v157, v20, v13, v158
	;; [unrolled: 1-line block ×20, first 2 shown]
	ds_load_b128 v[84:87], v107 offset:20480
	ds_load_b128 v[117:120], v107 offset:20736
	;; [unrolled: 1-line block ×4, first 2 shown]
	v_dot2_f32_f16 v3, v23, v15, v3
	v_dot2_f32_f16 v14, v20, v18, v171
	v_dot2_f32_f16 v8, v20, v19, v8
	v_dot2_f32_f16 v15, v21, v16, v172
	v_dot2_f32_f16 v20, v21, v17, v173
	v_dot2_f32_f16 v9, v21, v19, v9
	v_dot2_f32_f16 v21, v22, v16, v175
	v_dot2_f32_f16 v10, v22, v19, v10
	v_dot2_f32_f16 v4, v23, v16, v4
	v_dot2_f32_f16 v5, v23, v17, v5
	v_dot2_f32_f16 v6, v23, v18, v6
	v_dot2_f32_f16 v7, v23, v19, v7
	s_wait_dscnt 0x11
	v_dot2_f32_f16 v11, v64, v24, v11
	v_dot2_f32_f16 v16, v64, v25, v133
	v_dot2_f32_f16 v17, v64, v26, v134
	v_dot2_f32_f16 v18, v64, v27, v135
	v_dot2_f32_f16 v19, v65, v24, v136
	v_dot2_f32_f16 v22, v65, v25, v137
	v_dot2_f32_f16 v23, v65, v26, v138
	v_dot2_f32_f16 v133, v65, v27, v139
	v_dot2_f32_f16 v134, v66, v24, v140
	v_dot2_f32_f16 v135, v66, v25, v141
	v_dot2_f32_f16 v136, v66, v26, v142
	v_dot2_f32_f16 v137, v66, v27, v143
	v_dot2_f32_f16 v138, v67, v24, v144
	v_dot2_f32_f16 v139, v67, v25, v145
	v_dot2_f32_f16 v140, v67, v26, v146
	v_dot2_f32_f16 v141, v67, v27, v147
	v_dot2_f32_f16 v142, v64, v28, v148
	v_dot2_f32_f16 v143, v64, v29, v149
	v_dot2_f32_f16 v144, v64, v30, v150
	v_dot2_f32_f16 v60, v64, v31, v60
	v_dot2_f32_f16 v64, v65, v28, v129
	v_dot2_f32_f16 v129, v65, v29, v151
	v_dot2_f32_f16 v145, v65, v30, v152
	v_dot2_f32_f16 v61, v65, v31, v61
	v_dot2_f32_f16 v65, v66, v28, v130
	v_dot2_f32_f16 v130, v66, v29, v153
	v_dot2_f32_f16 v146, v66, v30, v154
	v_dot2_f32_f16 v62, v66, v31, v62
	v_dot2_f32_f16 v66, v67, v28, v131
	v_dot2_f32_f16 v131, v67, v29, v155
	v_dot2_f32_f16 v147, v67, v30, v156
	v_dot2_f32_f16 v63, v67, v31, v63
	s_wait_dscnt 0x10
	v_dot2_f32_f16 v67, v32, v24, v132
	v_dot2_f32_f16 v132, v32, v25, v157
	v_dot2_f32_f16 v148, v32, v26, v158
	v_dot2_f32_f16 v150, v33, v24, v160
	v_dot2_f32_f16 v151, v33, v25, v161
	v_dot2_f32_f16 v152, v33, v26, v162
	v_dot2_f32_f16 v154, v34, v24, v164
	v_dot2_f32_f16 v155, v34, v25, v165
	v_dot2_f32_f16 v156, v34, v26, v166
	v_dot2_f32_f16 v0, v35, v24, v0
	v_dot2_f32_f16 v1, v35, v25, v1
	v_dot2_f32_f16 v2, v35, v26, v2
	v_dot2_f32_f16 v24, v33, v30, v168
	v_dot2_f32_f16 v25, v34, v29, v169
	v_dot2_f32_f16 v26, v34, v30, v170
	v_dot2_f32_f16 v149, v32, v27, v159
	v_dot2_f32_f16 v153, v33, v27, v163
	v_dot2_f32_f16 v157, v34, v27, v167
	v_dot2_f32_f16 v3, v35, v27, v3
	v_dot2_f32_f16 v12, v32, v28, v12
	;; [unrolled: 33-line block ×5, first 2 shown]
	v_dot2_f32_f16 v41, v73, v53, v68
	v_dot2_f32_f16 v42, v73, v54, v129
	;; [unrolled: 1-line block ×10, first 2 shown]
	s_wait_dscnt 0x8
	v_dot2_f32_f16 v64, v56, v48, v67
	v_dot2_f32_f16 v65, v56, v49, v71
	;; [unrolled: 1-line block ×34, first 2 shown]
	s_wait_dscnt 0x5
	v_dot2_f32_f16 v11, v76, v109, v11
	v_dot2_f32_f16 v16, v76, v110, v16
	;; [unrolled: 1-line block ×18, first 2 shown]
	s_wait_dscnt 0x4
	v_dot2_f32_f16 v52, v80, v109, v64
	v_dot2_f32_f16 v53, v80, v110, v65
	v_dot2_f32_f16 v54, v80, v111, v66
	v_dot2_f32_f16 v56, v81, v109, v68
	v_dot2_f32_f16 v57, v81, v110, v69
	v_dot2_f32_f16 v58, v81, v111, v70
	v_dot2_f32_f16 v60, v82, v109, v72
	v_dot2_f32_f16 v61, v82, v110, v73
	v_dot2_f32_f16 v62, v82, v111, v74
	v_dot2_f32_f16 v64, v83, v109, v0
	v_dot2_f32_f16 v65, v83, v110, v1
	v_dot2_f32_f16 v66, v83, v111, v2
	v_dot2_f32_f16 v24, v81, v115, v24
	v_dot2_f32_f16 v25, v82, v114, v25
	v_dot2_f32_f16 v26, v82, v115, v26
	v_dot2_f32_f16 v35, v79, v112, v35
	v_dot2_f32_f16 v36, v76, v113, v36
	v_dot2_f32_f16 v37, v76, v114, v37
	v_dot2_f32_f16 v38, v76, v115, v38
	v_dot2_f32_f16 v39, v76, v116, v39
	v_dot2_f32_f16 v40, v77, v113, v40
	v_dot2_f32_f16 v41, v77, v114, v41
	v_dot2_f32_f16 v42, v77, v115, v42
	v_dot2_f32_f16 v43, v77, v116, v43
	v_dot2_f32_f16 v44, v78, v113, v44
	v_dot2_f32_f16 v45, v78, v114, v45
	v_dot2_f32_f16 v46, v78, v115, v46
	v_dot2_f32_f16 v47, v78, v116, v47
	v_dot2_f32_f16 v51, v79, v116, v63
	v_dot2_f32_f16 v55, v80, v112, v67
	v_dot2_f32_f16 v59, v81, v112, v71
	v_dot2_f32_f16 v63, v82, v112, v75
	v_dot2_f32_f16 v67, v83, v112, v3
	v_dot2_f32_f16 v68, v80, v113, v12
	v_dot2_f32_f16 v69, v80, v114, v13
	v_dot2_f32_f16 v70, v80, v115, v14
	v_dot2_f32_f16 v71, v80, v116, v8
	v_dot2_f32_f16 v72, v81, v113, v15
	v_dot2_f32_f16 v73, v81, v114, v20
	v_dot2_f32_f16 v74, v81, v116, v9
	v_dot2_f32_f16 v75, v82, v113, v21
	v_dot2_f32_f16 v76, v82, v116, v10
	v_dot2_f32_f16 v77, v83, v113, v4
	v_dot2_f32_f16 v78, v83, v114, v5
	v_dot2_f32_f16 v79, v83, v115, v6
	v_dot2_f32_f16 v80, v83, v116, v7
	s_wait_dscnt 0x1
	v_dot2_f32_f16 v81, v121, v84, v11
	v_dot2_f32_f16 v82, v121, v85, v16
	;; [unrolled: 1-line block ×15, first 2 shown]
	ds_load_b128 v[16:19], v106 offset:4608
	ds_load_b128 v[28:31], v106 offset:4864
	s_wait_dscnt 0x2
	v_dot2_f32_f16 v52, v125, v84, v52
	v_dot2_f32_f16 v53, v125, v85, v53
	;; [unrolled: 1-line block ×12, first 2 shown]
	ds_load_b128 v[20:23], v107 offset:20992
	v_dot2_f32_f16 v84, v126, v119, v24
	v_dot2_f32_f16 v85, v127, v118, v25
	;; [unrolled: 1-line block ×3, first 2 shown]
	ds_load_b128 v[24:27], v107 offset:21248
	v_dot2_f32_f16 v35, v124, v87, v35
	v_dot2_f32_f16 v36, v121, v117, v36
	;; [unrolled: 1-line block ×34, first 2 shown]
	s_wait_loadcnt 0x4
	v_perm_b32 v7, v97, v99, 0x7060302
	v_perm_b32 v5, v96, v98, 0x7060302
	v_perm_b32 v4, v96, v98, 0x5040100
	v_perm_b32 v6, v97, v99, 0x5040100
	s_wait_loadcnt 0x2
	v_perm_b32 v11, v95, v93, 0x7060302
	v_perm_b32 v9, v94, v92, 0x7060302
	v_perm_b32 v8, v94, v92, 0x5040100
	v_perm_b32 v10, v95, v93, 0x5040100
	s_wait_loadcnt 0x0
	v_perm_b32 v15, v89, v91, 0x7060302
	v_perm_b32 v13, v88, v90, 0x7060302
	v_perm_b32 v12, v88, v90, 0x5040100
	v_perm_b32 v14, v89, v91, 0x5040100
	s_wait_dscnt 0x1
	v_dot2_f32_f16 v81, v16, v20, v81
	v_dot2_f32_f16 v82, v16, v21, v82
	;; [unrolled: 1-line block ×16, first 2 shown]
	s_wait_dscnt 0x0
	v_dot2_f32_f16 v36, v16, v24, v36
	v_dot2_f32_f16 v37, v16, v25, v37
	;; [unrolled: 1-line block ×16, first 2 shown]
	ds_load_b128 v[16:19], v106 offset:5120
	v_dot2_f32_f16 v52, v28, v20, v52
	v_dot2_f32_f16 v53, v28, v21, v53
	;; [unrolled: 1-line block ×15, first 2 shown]
	ds_load_b128 v[32:35], v107 offset:21504
	v_dot2_f32_f16 v67, v31, v23, v67
	v_dot2_f32_f16 v68, v28, v24, v68
	;; [unrolled: 1-line block ×15, first 2 shown]
	ds_load_b128 v[20:23], v107 offset:21760
	v_dot2_f32_f16 v79, v31, v26, v79
	v_dot2_f32_f16 v80, v31, v27, v80
	ds_load_b128 v[24:27], v106 offset:5376
	s_wait_dscnt 0x2
	v_dot2_f32_f16 v81, v16, v32, v81
	v_dot2_f32_f16 v82, v16, v33, v82
	v_dot2_f32_f16 v83, v16, v34, v83
	v_dot2_f32_f16 v87, v16, v35, v87
	v_dot2_f32_f16 v88, v17, v32, v88
	v_dot2_f32_f16 v89, v17, v33, v89
	v_dot2_f32_f16 v90, v17, v34, v90
	v_dot2_f32_f16 v91, v17, v35, v91
	v_dot2_f32_f16 v92, v18, v32, v92
	v_dot2_f32_f16 v93, v18, v33, v93
	v_dot2_f32_f16 v94, v18, v34, v94
	v_dot2_f32_f16 v95, v18, v35, v95
	v_dot2_f32_f16 v96, v19, v32, v96
	v_dot2_f32_f16 v97, v19, v33, v97
	v_dot2_f32_f16 v98, v19, v34, v98
	v_dot2_f32_f16 v99, v19, v35, v99
	s_wait_dscnt 0x1
	v_dot2_f32_f16 v36, v16, v20, v36
	v_dot2_f32_f16 v37, v16, v21, v37
	;; [unrolled: 1-line block ×16, first 2 shown]
	ds_load_b128 v[16:19], v106 offset:5632
	s_wait_dscnt 0x1
	v_dot2_f32_f16 v52, v24, v32, v52
	v_dot2_f32_f16 v53, v24, v33, v53
	;; [unrolled: 1-line block ×15, first 2 shown]
	ds_load_b128 v[28:31], v107 offset:22016
	v_dot2_f32_f16 v67, v27, v35, v67
	v_dot2_f32_f16 v68, v24, v20, v68
	;; [unrolled: 1-line block ×15, first 2 shown]
	ds_load_b128 v[32:35], v107 offset:22272
	v_dot2_f32_f16 v79, v27, v22, v79
	v_dot2_f32_f16 v80, v27, v23, v80
	ds_load_b128 v[20:23], v106 offset:5888
	s_wait_dscnt 0x2
	v_dot2_f32_f16 v81, v16, v28, v81
	v_dot2_f32_f16 v82, v16, v29, v82
	;; [unrolled: 1-line block ×16, first 2 shown]
	s_wait_dscnt 0x1
	v_dot2_f32_f16 v36, v16, v32, v36
	v_dot2_f32_f16 v37, v16, v33, v37
	;; [unrolled: 1-line block ×16, first 2 shown]
	ds_load_b128 v[16:19], v106 offset:6144
	s_wait_dscnt 0x1
	v_dot2_f32_f16 v52, v20, v28, v52
	v_dot2_f32_f16 v53, v20, v29, v53
	v_dot2_f32_f16 v54, v20, v30, v54
	v_dot2_f32_f16 v55, v20, v31, v55
	v_dot2_f32_f16 v56, v21, v28, v56
	v_dot2_f32_f16 v57, v21, v29, v57
	v_dot2_f32_f16 v58, v21, v30, v58
	v_dot2_f32_f16 v59, v21, v31, v59
	v_dot2_f32_f16 v60, v22, v28, v60
	v_dot2_f32_f16 v61, v22, v29, v61
	v_dot2_f32_f16 v62, v22, v30, v62
	v_dot2_f32_f16 v63, v22, v31, v63
	v_dot2_f32_f16 v64, v23, v28, v64
	v_dot2_f32_f16 v65, v23, v29, v65
	v_dot2_f32_f16 v66, v23, v30, v66
	ds_load_b128 v[24:27], v107 offset:22528
	v_dot2_f32_f16 v67, v23, v31, v67
	v_dot2_f32_f16 v68, v20, v32, v68
	;; [unrolled: 1-line block ×15, first 2 shown]
	ds_load_b128 v[28:31], v107 offset:22784
	v_dot2_f32_f16 v79, v23, v34, v79
	v_dot2_f32_f16 v80, v23, v35, v80
	ds_load_b128 v[20:23], v106 offset:6400
	s_wait_dscnt 0x2
	v_dot2_f32_f16 v81, v16, v24, v81
	v_dot2_f32_f16 v82, v16, v25, v82
	;; [unrolled: 1-line block ×16, first 2 shown]
	s_wait_dscnt 0x1
	v_dot2_f32_f16 v36, v16, v28, v36
	v_dot2_f32_f16 v37, v16, v29, v37
	;; [unrolled: 1-line block ×16, first 2 shown]
	ds_load_b128 v[16:19], v106 offset:6656
	s_wait_dscnt 0x1
	v_dot2_f32_f16 v52, v20, v24, v52
	v_dot2_f32_f16 v53, v20, v25, v53
	;; [unrolled: 1-line block ×15, first 2 shown]
	ds_load_b128 v[32:35], v107 offset:23040
	v_dot2_f32_f16 v67, v23, v27, v67
	v_dot2_f32_f16 v68, v20, v28, v68
	v_dot2_f32_f16 v69, v20, v29, v69
	v_dot2_f32_f16 v70, v20, v30, v70
	v_dot2_f32_f16 v71, v20, v31, v71
	v_dot2_f32_f16 v72, v21, v28, v72
	v_dot2_f32_f16 v73, v21, v29, v73
	v_dot2_f32_f16 v84, v21, v30, v84
	v_dot2_f32_f16 v74, v21, v31, v74
	v_dot2_f32_f16 v75, v22, v28, v75
	v_dot2_f32_f16 v85, v22, v29, v85
	v_dot2_f32_f16 v86, v22, v30, v86
	v_dot2_f32_f16 v76, v22, v31, v76
	v_dot2_f32_f16 v77, v23, v28, v77
	v_dot2_f32_f16 v78, v23, v29, v78
	ds_load_b128 v[24:27], v107 offset:23296
	v_dot2_f32_f16 v79, v23, v30, v79
	v_dot2_f32_f16 v80, v23, v31, v80
	ds_load_b128 v[20:23], v106 offset:6912
	s_wait_dscnt 0x2
	v_dot2_f32_f16 v81, v16, v32, v81
	v_dot2_f32_f16 v82, v16, v33, v82
	v_dot2_f32_f16 v83, v16, v34, v83
	v_dot2_f32_f16 v87, v16, v35, v87
	v_dot2_f32_f16 v88, v17, v32, v88
	v_dot2_f32_f16 v89, v17, v33, v89
	v_dot2_f32_f16 v90, v17, v34, v90
	v_dot2_f32_f16 v91, v17, v35, v91
	v_dot2_f32_f16 v92, v18, v32, v92
	v_dot2_f32_f16 v93, v18, v33, v93
	v_dot2_f32_f16 v94, v18, v34, v94
	v_dot2_f32_f16 v95, v18, v35, v95
	v_dot2_f32_f16 v96, v19, v32, v96
	v_dot2_f32_f16 v97, v19, v33, v97
	v_dot2_f32_f16 v98, v19, v34, v98
	v_dot2_f32_f16 v99, v19, v35, v99
	s_wait_dscnt 0x1
	v_dot2_f32_f16 v36, v16, v24, v36
	v_dot2_f32_f16 v37, v16, v25, v37
	;; [unrolled: 1-line block ×16, first 2 shown]
	ds_load_b128 v[16:19], v106 offset:7168
	s_wait_dscnt 0x1
	v_dot2_f32_f16 v52, v20, v32, v52
	v_dot2_f32_f16 v53, v20, v33, v53
	;; [unrolled: 1-line block ×15, first 2 shown]
	ds_load_b128 v[28:31], v107 offset:23552
	v_dot2_f32_f16 v67, v23, v35, v67
	v_dot2_f32_f16 v68, v20, v24, v68
	;; [unrolled: 1-line block ×15, first 2 shown]
	ds_load_b128 v[32:35], v107 offset:23808
	v_dot2_f32_f16 v79, v23, v26, v79
	v_dot2_f32_f16 v80, v23, v27, v80
	ds_load_b128 v[20:23], v106 offset:7424
	v_perm_b32 v3, v103, v101, 0x7060302
	v_perm_b32 v1, v102, v100, 0x7060302
	;; [unrolled: 1-line block ×4, first 2 shown]
	s_wait_dscnt 0x2
	v_dot2_f32_f16 v81, v16, v28, v81
	v_dot2_f32_f16 v82, v16, v29, v82
	;; [unrolled: 1-line block ×16, first 2 shown]
	s_wait_dscnt 0x1
	v_dot2_f32_f16 v36, v16, v32, v36
	v_dot2_f32_f16 v37, v16, v33, v37
	;; [unrolled: 1-line block ×16, first 2 shown]
	ds_load_b128 v[16:19], v106 offset:7680
	s_wait_dscnt 0x1
	v_dot2_f32_f16 v52, v20, v28, v52
	v_dot2_f32_f16 v53, v20, v29, v53
	v_dot2_f32_f16 v54, v20, v30, v54
	v_dot2_f32_f16 v55, v20, v31, v55
	v_dot2_f32_f16 v56, v21, v28, v56
	v_dot2_f32_f16 v57, v21, v29, v57
	v_dot2_f32_f16 v58, v21, v30, v58
	v_dot2_f32_f16 v59, v21, v31, v59
	v_dot2_f32_f16 v60, v22, v28, v60
	v_dot2_f32_f16 v61, v22, v29, v61
	v_dot2_f32_f16 v62, v22, v30, v62
	v_dot2_f32_f16 v63, v22, v31, v63
	v_dot2_f32_f16 v64, v23, v28, v64
	v_dot2_f32_f16 v65, v23, v29, v65
	v_dot2_f32_f16 v66, v23, v30, v66
	ds_load_b128 v[24:27], v107 offset:24064
	v_dot2_f32_f16 v67, v23, v31, v67
	v_dot2_f32_f16 v68, v20, v32, v68
	;; [unrolled: 1-line block ×15, first 2 shown]
	ds_load_b128 v[28:31], v107 offset:24320
	v_dot2_f32_f16 v34, v23, v34, v79
	v_dot2_f32_f16 v35, v23, v35, v80
	ds_load_b128 v[20:23], v106 offset:7936
	ds_store_b128 v108, v[0:3] offset:8192
	ds_store_b128 v108, v[4:7] offset:8704
	;; [unrolled: 1-line block ×4, first 2 shown]
	s_wait_dscnt 0x0
	s_barrier_signal -1
	s_barrier_wait -1
	ds_load_b128 v[0:3], v106 offset:8192
	ds_load_b128 v[4:7], v107 offset:24576
	;; [unrolled: 1-line block ×4, first 2 shown]
	v_dot2_f32_f16 v77, v16, v24, v81
	v_dot2_f32_f16 v78, v16, v25, v82
	;; [unrolled: 1-line block ×64, first 2 shown]
	s_wait_dscnt 0x2
	v_dot2_f32_f16 v31, v0, v4, v77
	v_dot2_f32_f16 v32, v0, v5, v78
	;; [unrolled: 1-line block ×16, first 2 shown]
	s_wait_dscnt 0x1
	v_dot2_f32_f16 v36, v0, v8, v36
	v_dot2_f32_f16 v37, v0, v9, v37
	;; [unrolled: 1-line block ×16, first 2 shown]
	ds_load_b128 v[0:3], v106 offset:8704
	s_wait_dscnt 0x1
	v_dot2_f32_f16 v48, v12, v4, v48
	v_dot2_f32_f16 v49, v12, v5, v49
	;; [unrolled: 1-line block ×15, first 2 shown]
	ds_load_b128 v[16:19], v107 offset:25088
	v_dot2_f32_f16 v27, v15, v7, v27
	v_dot2_f32_f16 v60, v12, v8, v60
	v_dot2_f32_f16 v61, v12, v9, v61
	v_dot2_f32_f16 v62, v12, v10, v62
	v_dot2_f32_f16 v20, v12, v11, v20
	v_dot2_f32_f16 v63, v13, v8, v63
	v_dot2_f32_f16 v64, v13, v9, v64
	v_dot2_f32_f16 v65, v13, v10, v65
	v_dot2_f32_f16 v21, v13, v11, v21
	v_dot2_f32_f16 v66, v14, v8, v66
	v_dot2_f32_f16 v67, v14, v9, v67
	v_dot2_f32_f16 v68, v14, v10, v68
	v_dot2_f32_f16 v22, v14, v11, v22
	v_dot2_f32_f16 v28, v15, v8, v28
	v_dot2_f32_f16 v29, v15, v9, v29
	ds_load_b128 v[4:7], v107 offset:25344
	v_dot2_f32_f16 v30, v15, v10, v30
	v_dot2_f32_f16 v23, v15, v11, v23
	ds_load_b128 v[8:11], v106 offset:8960
	s_wait_dscnt 0x2
	v_dot2_f32_f16 v31, v0, v16, v31
	v_dot2_f32_f16 v32, v0, v17, v32
	;; [unrolled: 1-line block ×16, first 2 shown]
	s_wait_dscnt 0x1
	v_dot2_f32_f16 v36, v0, v4, v36
	v_dot2_f32_f16 v37, v0, v5, v37
	;; [unrolled: 1-line block ×16, first 2 shown]
	ds_load_b128 v[0:3], v106 offset:9216
	s_wait_dscnt 0x1
	v_dot2_f32_f16 v48, v8, v16, v48
	v_dot2_f32_f16 v49, v8, v17, v49
	;; [unrolled: 1-line block ×15, first 2 shown]
	ds_load_b128 v[12:15], v107 offset:25600
	v_dot2_f32_f16 v27, v11, v19, v27
	v_dot2_f32_f16 v60, v8, v4, v60
	;; [unrolled: 1-line block ×15, first 2 shown]
	ds_load_b128 v[16:19], v107 offset:25856
	v_dot2_f32_f16 v30, v11, v6, v30
	v_dot2_f32_f16 v23, v11, v7, v23
	ds_load_b128 v[4:7], v106 offset:9472
	s_wait_dscnt 0x2
	v_dot2_f32_f16 v31, v0, v12, v31
	v_dot2_f32_f16 v32, v0, v13, v32
	;; [unrolled: 1-line block ×16, first 2 shown]
	s_wait_dscnt 0x1
	v_dot2_f32_f16 v36, v0, v16, v36
	v_dot2_f32_f16 v37, v0, v17, v37
	;; [unrolled: 1-line block ×16, first 2 shown]
	ds_load_b128 v[0:3], v106 offset:9728
	s_wait_dscnt 0x1
	v_dot2_f32_f16 v48, v4, v12, v48
	v_dot2_f32_f16 v49, v4, v13, v49
	;; [unrolled: 1-line block ×15, first 2 shown]
	ds_load_b128 v[8:11], v107 offset:26112
	v_dot2_f32_f16 v27, v7, v15, v27
	v_dot2_f32_f16 v60, v4, v16, v60
	;; [unrolled: 1-line block ×15, first 2 shown]
	ds_load_b128 v[12:15], v107 offset:26368
	v_dot2_f32_f16 v30, v7, v18, v30
	v_dot2_f32_f16 v23, v7, v19, v23
	ds_load_b128 v[4:7], v106 offset:9984
	s_wait_dscnt 0x2
	v_dot2_f32_f16 v31, v0, v8, v31
	v_dot2_f32_f16 v32, v0, v9, v32
	;; [unrolled: 1-line block ×16, first 2 shown]
	s_wait_dscnt 0x1
	v_dot2_f32_f16 v36, v0, v12, v36
	v_dot2_f32_f16 v37, v0, v13, v37
	;; [unrolled: 1-line block ×16, first 2 shown]
	ds_load_b128 v[0:3], v106 offset:10240
	s_wait_dscnt 0x1
	v_dot2_f32_f16 v48, v4, v8, v48
	v_dot2_f32_f16 v49, v4, v9, v49
	;; [unrolled: 1-line block ×15, first 2 shown]
	ds_load_b128 v[16:19], v107 offset:26624
	v_dot2_f32_f16 v27, v7, v11, v27
	v_dot2_f32_f16 v60, v4, v12, v60
	;; [unrolled: 1-line block ×15, first 2 shown]
	ds_load_b128 v[8:11], v107 offset:26880
	v_dot2_f32_f16 v30, v7, v14, v30
	v_dot2_f32_f16 v23, v7, v15, v23
	ds_load_b128 v[4:7], v106 offset:10496
	s_wait_dscnt 0x2
	v_dot2_f32_f16 v31, v0, v16, v31
	v_dot2_f32_f16 v32, v0, v17, v32
	;; [unrolled: 1-line block ×16, first 2 shown]
	s_wait_dscnt 0x1
	v_dot2_f32_f16 v36, v0, v8, v36
	v_dot2_f32_f16 v37, v0, v9, v37
	;; [unrolled: 1-line block ×16, first 2 shown]
	ds_load_b128 v[0:3], v106 offset:10752
	s_wait_dscnt 0x1
	v_dot2_f32_f16 v48, v4, v16, v48
	v_dot2_f32_f16 v49, v4, v17, v49
	;; [unrolled: 1-line block ×15, first 2 shown]
	ds_load_b128 v[12:15], v107 offset:27136
	v_dot2_f32_f16 v27, v7, v19, v27
	v_dot2_f32_f16 v60, v4, v8, v60
	;; [unrolled: 1-line block ×15, first 2 shown]
	ds_load_b128 v[16:19], v107 offset:27392
	v_dot2_f32_f16 v30, v7, v10, v30
	v_dot2_f32_f16 v23, v7, v11, v23
	ds_load_b128 v[4:7], v106 offset:11008
	s_wait_dscnt 0x2
	v_dot2_f32_f16 v31, v0, v12, v31
	v_dot2_f32_f16 v32, v0, v13, v32
	;; [unrolled: 1-line block ×16, first 2 shown]
	s_wait_dscnt 0x1
	v_dot2_f32_f16 v36, v0, v16, v36
	v_dot2_f32_f16 v37, v0, v17, v37
	;; [unrolled: 1-line block ×16, first 2 shown]
	ds_load_b128 v[0:3], v106 offset:11264
	s_wait_dscnt 0x1
	v_dot2_f32_f16 v48, v4, v12, v48
	v_dot2_f32_f16 v49, v4, v13, v49
	;; [unrolled: 1-line block ×15, first 2 shown]
	ds_load_b128 v[8:11], v107 offset:27648
	v_dot2_f32_f16 v27, v7, v15, v27
	v_dot2_f32_f16 v60, v4, v16, v60
	;; [unrolled: 1-line block ×15, first 2 shown]
	ds_load_b128 v[12:15], v107 offset:27904
	v_dot2_f32_f16 v30, v7, v18, v30
	v_dot2_f32_f16 v23, v7, v19, v23
	ds_load_b128 v[4:7], v106 offset:11520
	s_wait_dscnt 0x2
	v_dot2_f32_f16 v31, v0, v8, v31
	v_dot2_f32_f16 v32, v0, v9, v32
	;; [unrolled: 1-line block ×16, first 2 shown]
	s_wait_dscnt 0x1
	v_dot2_f32_f16 v36, v0, v12, v36
	v_dot2_f32_f16 v37, v0, v13, v37
	;; [unrolled: 1-line block ×16, first 2 shown]
	ds_load_b128 v[0:3], v106 offset:11776
	s_wait_dscnt 0x1
	v_dot2_f32_f16 v48, v4, v8, v48
	v_dot2_f32_f16 v49, v4, v9, v49
	;; [unrolled: 1-line block ×15, first 2 shown]
	ds_load_b128 v[16:19], v107 offset:28160
	v_dot2_f32_f16 v27, v7, v11, v27
	v_dot2_f32_f16 v60, v4, v12, v60
	;; [unrolled: 1-line block ×15, first 2 shown]
	ds_load_b128 v[8:11], v107 offset:28416
	v_dot2_f32_f16 v30, v7, v14, v30
	v_dot2_f32_f16 v23, v7, v15, v23
	ds_load_b128 v[4:7], v106 offset:12032
	s_wait_dscnt 0x2
	v_dot2_f32_f16 v31, v0, v16, v31
	v_dot2_f32_f16 v32, v0, v17, v32
	;; [unrolled: 1-line block ×16, first 2 shown]
	s_wait_dscnt 0x1
	v_dot2_f32_f16 v36, v0, v8, v36
	v_dot2_f32_f16 v37, v0, v9, v37
	;; [unrolled: 1-line block ×16, first 2 shown]
	ds_load_b128 v[0:3], v106 offset:12288
	s_wait_dscnt 0x1
	v_dot2_f32_f16 v48, v4, v16, v48
	v_dot2_f32_f16 v49, v4, v17, v49
	;; [unrolled: 1-line block ×15, first 2 shown]
	ds_load_b128 v[12:15], v107 offset:28672
	v_dot2_f32_f16 v27, v7, v19, v27
	v_dot2_f32_f16 v60, v4, v8, v60
	;; [unrolled: 1-line block ×15, first 2 shown]
	ds_load_b128 v[16:19], v107 offset:28928
	v_dot2_f32_f16 v30, v7, v10, v30
	v_dot2_f32_f16 v23, v7, v11, v23
	ds_load_b128 v[4:7], v106 offset:12544
	s_wait_dscnt 0x2
	v_dot2_f32_f16 v31, v0, v12, v31
	v_dot2_f32_f16 v32, v0, v13, v32
	;; [unrolled: 1-line block ×16, first 2 shown]
	s_wait_dscnt 0x1
	v_dot2_f32_f16 v36, v0, v16, v36
	v_dot2_f32_f16 v37, v0, v17, v37
	;; [unrolled: 1-line block ×16, first 2 shown]
	ds_load_b128 v[0:3], v106 offset:12800
	s_wait_dscnt 0x1
	v_dot2_f32_f16 v48, v4, v12, v48
	v_dot2_f32_f16 v49, v4, v13, v49
	;; [unrolled: 1-line block ×15, first 2 shown]
	ds_load_b128 v[8:11], v107 offset:29184
	v_dot2_f32_f16 v27, v7, v15, v27
	v_dot2_f32_f16 v60, v4, v16, v60
	;; [unrolled: 1-line block ×15, first 2 shown]
	ds_load_b128 v[12:15], v107 offset:29440
	v_dot2_f32_f16 v30, v7, v18, v30
	v_dot2_f32_f16 v23, v7, v19, v23
	ds_load_b128 v[4:7], v106 offset:13056
	s_wait_dscnt 0x2
	v_dot2_f32_f16 v31, v0, v8, v31
	v_dot2_f32_f16 v32, v0, v9, v32
	;; [unrolled: 1-line block ×16, first 2 shown]
	s_wait_dscnt 0x1
	v_dot2_f32_f16 v36, v0, v12, v36
	v_dot2_f32_f16 v37, v0, v13, v37
	;; [unrolled: 1-line block ×16, first 2 shown]
	ds_load_b128 v[0:3], v106 offset:13312
	s_wait_dscnt 0x1
	v_dot2_f32_f16 v48, v4, v8, v48
	v_dot2_f32_f16 v49, v4, v9, v49
	;; [unrolled: 1-line block ×15, first 2 shown]
	ds_load_b128 v[16:19], v107 offset:29696
	v_dot2_f32_f16 v27, v7, v11, v27
	v_dot2_f32_f16 v60, v4, v12, v60
	v_dot2_f32_f16 v61, v4, v13, v61
	v_dot2_f32_f16 v62, v4, v14, v62
	v_dot2_f32_f16 v20, v4, v15, v20
	v_dot2_f32_f16 v63, v5, v12, v63
	v_dot2_f32_f16 v64, v5, v13, v64
	v_dot2_f32_f16 v65, v5, v14, v65
	v_dot2_f32_f16 v21, v5, v15, v21
	v_dot2_f32_f16 v66, v6, v12, v66
	v_dot2_f32_f16 v67, v6, v13, v67
	v_dot2_f32_f16 v68, v6, v14, v68
	v_dot2_f32_f16 v22, v6, v15, v22
	v_dot2_f32_f16 v28, v7, v12, v28
	v_dot2_f32_f16 v29, v7, v13, v29
	ds_load_b128 v[8:11], v107 offset:29952
	v_dot2_f32_f16 v30, v7, v14, v30
	v_dot2_f32_f16 v23, v7, v15, v23
	ds_load_b128 v[4:7], v106 offset:13568
	s_wait_dscnt 0x2
	v_dot2_f32_f16 v31, v0, v16, v31
	v_dot2_f32_f16 v32, v0, v17, v32
	;; [unrolled: 1-line block ×16, first 2 shown]
	s_wait_dscnt 0x1
	v_dot2_f32_f16 v36, v0, v8, v36
	v_dot2_f32_f16 v37, v0, v9, v37
	;; [unrolled: 1-line block ×16, first 2 shown]
	ds_load_b128 v[0:3], v106 offset:13824
	s_wait_dscnt 0x1
	v_dot2_f32_f16 v48, v4, v16, v48
	v_dot2_f32_f16 v49, v4, v17, v49
	;; [unrolled: 1-line block ×15, first 2 shown]
	ds_load_b128 v[12:15], v107 offset:30208
	v_dot2_f32_f16 v27, v7, v19, v27
	v_dot2_f32_f16 v60, v4, v8, v60
	;; [unrolled: 1-line block ×15, first 2 shown]
	ds_load_b128 v[16:19], v107 offset:30464
	v_dot2_f32_f16 v30, v7, v10, v30
	v_dot2_f32_f16 v23, v7, v11, v23
	ds_load_b128 v[4:7], v106 offset:14080
	s_wait_dscnt 0x2
	v_dot2_f32_f16 v31, v0, v12, v31
	v_dot2_f32_f16 v32, v0, v13, v32
	;; [unrolled: 1-line block ×16, first 2 shown]
	s_wait_dscnt 0x1
	v_dot2_f32_f16 v36, v0, v16, v36
	v_dot2_f32_f16 v37, v0, v17, v37
	;; [unrolled: 1-line block ×16, first 2 shown]
	ds_load_b128 v[0:3], v106 offset:14336
	s_wait_dscnt 0x1
	v_dot2_f32_f16 v48, v4, v12, v48
	v_dot2_f32_f16 v49, v4, v13, v49
	;; [unrolled: 1-line block ×15, first 2 shown]
	ds_load_b128 v[8:11], v107 offset:30720
	v_dot2_f32_f16 v27, v7, v15, v27
	v_dot2_f32_f16 v60, v4, v16, v60
	;; [unrolled: 1-line block ×15, first 2 shown]
	ds_load_b128 v[12:15], v107 offset:30976
	v_dot2_f32_f16 v30, v7, v18, v30
	v_dot2_f32_f16 v23, v7, v19, v23
	ds_load_b128 v[4:7], v106 offset:14592
	s_wait_dscnt 0x2
	v_dot2_f32_f16 v31, v0, v8, v31
	v_dot2_f32_f16 v32, v0, v9, v32
	;; [unrolled: 1-line block ×16, first 2 shown]
	s_wait_dscnt 0x1
	v_dot2_f32_f16 v36, v0, v12, v36
	v_dot2_f32_f16 v37, v0, v13, v37
	;; [unrolled: 1-line block ×16, first 2 shown]
	ds_load_b128 v[0:3], v106 offset:14848
	s_wait_dscnt 0x1
	v_dot2_f32_f16 v48, v4, v8, v48
	v_dot2_f32_f16 v49, v4, v9, v49
	;; [unrolled: 1-line block ×15, first 2 shown]
	ds_load_b128 v[16:19], v107 offset:31232
	v_dot2_f32_f16 v27, v7, v11, v27
	v_dot2_f32_f16 v60, v4, v12, v60
	;; [unrolled: 1-line block ×15, first 2 shown]
	ds_load_b128 v[8:11], v107 offset:31488
	v_dot2_f32_f16 v30, v7, v14, v30
	v_dot2_f32_f16 v23, v7, v15, v23
	ds_load_b128 v[4:7], v106 offset:15104
	s_wait_dscnt 0x2
	v_dot2_f32_f16 v31, v0, v16, v31
	v_dot2_f32_f16 v32, v0, v17, v32
	;; [unrolled: 1-line block ×16, first 2 shown]
	s_wait_dscnt 0x1
	v_dot2_f32_f16 v36, v0, v8, v36
	v_dot2_f32_f16 v37, v0, v9, v37
	;; [unrolled: 1-line block ×16, first 2 shown]
	ds_load_b128 v[0:3], v106 offset:15360
	s_wait_dscnt 0x1
	v_dot2_f32_f16 v48, v4, v16, v48
	v_dot2_f32_f16 v49, v4, v17, v49
	;; [unrolled: 1-line block ×15, first 2 shown]
	ds_load_b128 v[12:15], v107 offset:31744
	v_dot2_f32_f16 v27, v7, v19, v27
	v_dot2_f32_f16 v60, v4, v8, v60
	;; [unrolled: 1-line block ×15, first 2 shown]
	ds_load_b128 v[16:19], v107 offset:32000
	v_dot2_f32_f16 v30, v7, v10, v30
	v_dot2_f32_f16 v23, v7, v11, v23
	ds_load_b128 v[4:7], v106 offset:15616
	s_wait_dscnt 0x2
	v_dot2_f32_f16 v31, v0, v12, v31
	v_dot2_f32_f16 v32, v0, v13, v32
	;; [unrolled: 1-line block ×16, first 2 shown]
	s_wait_dscnt 0x1
	v_dot2_f32_f16 v36, v0, v16, v36
	v_dot2_f32_f16 v37, v0, v17, v37
	;; [unrolled: 1-line block ×16, first 2 shown]
	ds_load_b128 v[0:3], v106 offset:15872
	s_wait_dscnt 0x1
	v_dot2_f32_f16 v48, v4, v12, v48
	v_dot2_f32_f16 v49, v4, v13, v49
	;; [unrolled: 1-line block ×15, first 2 shown]
	ds_load_b128 v[8:11], v107 offset:32256
	v_dot2_f32_f16 v27, v7, v15, v27
	ds_load_b128 v[12:15], v107 offset:32512
	v_dot2_f32_f16 v60, v4, v16, v60
	v_dot2_f32_f16 v61, v4, v17, v61
	;; [unrolled: 1-line block ×16, first 2 shown]
	ds_load_b128 v[4:7], v106 offset:16128
	s_wait_dscnt 0x2
	v_dot2_f32_f16 v23, v0, v8, v31
	v_dot2_f32_f16 v28, v0, v9, v32
	;; [unrolled: 1-line block ×7, first 2 shown]
	s_wait_dscnt 0x1
	v_dot2_f32_f16 v36, v0, v12, v36
	v_dot2_f32_f16 v37, v0, v13, v37
	;; [unrolled: 1-line block ×4, first 2 shown]
	v_or_b32_e32 v0, s12, v104
	v_dot2_f32_f16 v32, v1, v9, v69
	v_dot2_f32_f16 v33, v1, v10, v70
	;; [unrolled: 1-line block ×4, first 2 shown]
	v_mul_lo_u32 v0, v0, s24
	v_dot2_f32_f16 v70, v2, v10, v74
	v_dot2_f32_f16 v71, v2, v11, v75
	;; [unrolled: 1-line block ×17, first 2 shown]
	s_wait_dscnt 0x0
	v_dot2_f32_f16 v48, v4, v8, v48
	v_dot2_f32_f16 v49, v4, v9, v49
	;; [unrolled: 1-line block ×24, first 2 shown]
	v_cvt_f16_f32_e32 v2, v23
	v_cvt_f16_f32_e32 v1, v29
	v_cvt_f16_f32_e32 v3, v30
	v_cvt_f16_f32_e32 v4, v28
	v_add3_u32 v5, s7, v105, v0
	s_mov_b32 s7, s3
	v_dot2_f32_f16 v62, v6, v12, v66
	v_pack_b32_f16 v1, v1, v3
	v_pack_b32_f16 v0, v2, v4
	v_lshlrev_b32_e32 v2, 1, v5
	v_add_nc_u32_e32 v4, 64, v5
	v_cvt_f16_f32_e32 v3, v76
	v_dot2_f32_f16 v63, v6, v13, v67
	v_dot2_f32_f16 v64, v6, v14, v68
	buffer_store_b64 v[0:1], v2, s[4:7], null offen
	v_cvt_f16_f32_e32 v0, v36
	v_cvt_f16_f32_e32 v2, v37
	;; [unrolled: 1-line block ×3, first 2 shown]
	v_dot2_f32_f16 v6, v6, v15, v22
	v_dot2_f32_f16 v12, v7, v12, v16
	;; [unrolled: 1-line block ×5, first 2 shown]
	v_cvt_f16_f32_e32 v15, v39
	v_cvt_f16_f32_e32 v16, v41
	;; [unrolled: 1-line block ×4, first 2 shown]
	v_pack_b32_f16 v1, v1, v3
	v_pack_b32_f16 v0, v0, v2
	v_lshlrev_b32_e32 v19, 1, v4
	v_pack_b32_f16 v3, v16, v17
	v_pack_b32_f16 v2, v15, v18
	v_add_lshl_u32 v4, v4, s24, 1
	v_cvt_f16_f32_e32 v16, v33
	v_cvt_f16_f32_e32 v17, v34
	s_clause 0x1
	buffer_store_b64 v[0:1], v19, s[4:7], null offen
	buffer_store_b64 v[2:3], v4, s[4:7], null offen
	v_add_nc_u32_e32 v2, s24, v5
	v_cvt_f16_f32_e32 v15, v31
	v_cvt_f16_f32_e32 v18, v32
	v_pack_b32_f16 v1, v16, v17
	v_cvt_f16_f32_e32 v3, v70
	v_cvt_f16_f32_e32 v4, v71
	v_add_nc_u32_e32 v16, s24, v2
	v_pack_b32_f16 v0, v15, v18
	v_lshlrev_b32_e32 v15, 1, v2
	v_cvt_f16_f32_e32 v2, v35
	v_cvt_f16_f32_e32 v5, v69
	v_pack_b32_f16 v3, v3, v4
	v_cvt_f16_f32_e32 v4, v42
	v_cvt_f16_f32_e32 v17, v44
	;; [unrolled: 1-line block ×4, first 2 shown]
	v_add_nc_u32_e32 v22, 64, v16
	v_pack_b32_f16 v2, v2, v5
	v_lshlrev_b32_e32 v23, 1, v16
	v_pack_b32_f16 v5, v17, v18
	v_pack_b32_f16 v4, v4, v19
	v_lshlrev_b32_e32 v17, 1, v22
	s_clause 0x2
	buffer_store_b64 v[0:1], v15, s[4:7], null offen
	buffer_store_b64 v[2:3], v23, s[4:7], null offen
	buffer_store_b64 v[4:5], v17, s[4:7], null offen
	v_add_nc_u32_e32 v4, s24, v16
	v_cvt_f16_f32_e32 v18, v45
	v_cvt_f16_f32_e32 v19, v47
	;; [unrolled: 1-line block ×12, first 2 shown]
	v_lshl_add_u32 v17, s24, 6, v4
	v_pack_b32_f16 v1, v19, v28
	v_pack_b32_f16 v0, v18, v29
	v_add_lshl_u32 v15, v22, s24, 1
	v_pack_b32_f16 v3, v2, v3
	v_pack_b32_f16 v2, v5, v16
	v_lshlrev_b32_e32 v16, 1, v4
	v_pack_b32_f16 v5, v10, v11
	v_pack_b32_f16 v4, v8, v9
	v_lshlrev_b32_e32 v8, 1, v17
	s_clause 0x1
	buffer_store_b64 v[0:1], v15, s[4:7], null offen
	buffer_store_b64 v[2:3], v16, s[4:7], null offen
	v_add_nc_u32_e32 v2, 64, v17
	v_cvt_f16_f32_e32 v0, v14
	v_cvt_f16_f32_e32 v1, v7
	buffer_store_b64 v[4:5], v8, s[4:7], null offen
	v_cvt_f16_f32_e32 v3, v12
	v_cvt_f16_f32_e32 v4, v13
	v_cvt_f16_f32_e32 v5, v62
	v_cvt_f16_f32_e32 v7, v64
	v_cvt_f16_f32_e32 v6, v6
	v_cvt_f16_f32_e32 v8, v63
	v_subrev_nc_u32_e32 v9, s24, v2
	v_pack_b32_f16 v1, v0, v1
	v_pack_b32_f16 v0, v3, v4
	v_lshlrev_b32_e32 v4, 1, v2
	v_pack_b32_f16 v3, v7, v6
	v_pack_b32_f16 v2, v5, v8
	v_lshlrev_b32_e32 v5, 1, v9
	s_clause 0x1
	buffer_store_b64 v[0:1], v4, s[4:7], null offen
	buffer_store_b64 v[2:3], v5, s[4:7], null offen
	v_subrev_nc_u32_e32 v2, 64, v9
	v_cvt_f16_f32_e32 v6, v56
	v_cvt_f16_f32_e32 v10, v57
	;; [unrolled: 1-line block ×4, first 2 shown]
	v_subrev_nc_u32_e32 v5, s24, v2
	v_cvt_f16_f32_e32 v3, v54
	v_cvt_f16_f32_e32 v4, v55
	v_pack_b32_f16 v0, v6, v10
	v_lshlrev_b32_e32 v10, 1, v2
	v_cvt_f16_f32_e32 v2, v52
	v_cvt_f16_f32_e32 v6, v53
	v_add_nc_u32_e32 v11, 64, v5
	v_pack_b32_f16 v1, v7, v8
	v_pack_b32_f16 v3, v3, v4
	v_cvt_f16_f32_e32 v4, v27
	v_cvt_f16_f32_e32 v7, v61
	;; [unrolled: 1-line block ×4, first 2 shown]
	v_pack_b32_f16 v2, v2, v6
	v_subrev_nc_u32_e32 v6, s24, v11
	v_lshlrev_b32_e32 v12, 1, v5
	v_pack_b32_f16 v5, v7, v8
	v_pack_b32_f16 v4, v4, v9
	v_lshlrev_b32_e32 v13, 1, v11
	v_cvt_f16_f32_e32 v8, v24
	v_cvt_f16_f32_e32 v9, v25
	;; [unrolled: 1-line block ×8, first 2 shown]
	v_lshlrev_b32_e32 v18, 1, v6
	v_pack_b32_f16 v7, v7, v11
	v_pack_b32_f16 v6, v8, v9
	;; [unrolled: 1-line block ×4, first 2 shown]
	v_add_nc_u32_e32 v11, 0xffffff80, v18
	s_clause 0x4
	buffer_store_b64 v[0:1], v10, s[4:7], null offen
	buffer_store_b64 v[2:3], v12, s[4:7], null offen
	;; [unrolled: 1-line block ×5, first 2 shown]
	s_nop 0
	s_sendmsg sendmsg(MSG_DEALLOC_VGPRS)
	s_endpgm
	.section	.rodata,"a",@progbits
	.p2align	6, 0x0
	.amdhsa_kernel _ZN2ck19kernel_gemm_dl_v1r3INS_28GridwiseGemmDl_km_kn_mn_v1r3ILi256EDF16_fDF16_LNS_25InMemoryDataOperationEnumE0ENS_16TensorDescriptorINS_5TupleIJNS_5EmbedINS4_IJiiEEENS4_IJNS_17integral_constantIiLi1EEEiEEELb0EEENS_7UnMergeINS4_IJiNS7_IiLi2EEEEEELb0EEENS_11PassThroughIiEEEEENS4_IJNS_8SequenceIJLi0EEEENSI_IJLi2EEEENSI_IJLi1EEEEEEENS4_IJNSI_IJLi1ELi2EEEENSI_IJLi3ELi4EEEENSI_IJLi5EEEEEEENSI_IJLi3ELi5ELi4EEEElEENS3_INS4_IJNS5_IS6_NS4_IJiS8_EEELb0EEESE_SG_EEENS4_IJSJ_SL_SK_EEESQ_SR_lEENS3_INS4_IJSU_SG_SG_EEESW_NS4_IJSN_NSI_IJLi3EEEENSI_IJLi4EEEEEEESO_lEELi128ELi128ELi16ELi2ELi4ELi4ELi1ENSI_IJLi8ELi2EEEES13_NSI_IJLi2ELi1ELi4ELi2EEEENSI_IJLi8ELi1ELi32ELi1EEEENSI_IJLi0ELi3ELi1ELi2EEEES16_NSI_IJLi1ELi1ELi4ELi1EEEES16_NSI_IJLi1ELi1ELi4ELi2EEEES14_S15_S16_S16_S17_S16_S18_NSI_IJLi0ELi1ELi2ELi3ELi4ELi5EEEELi5ELi4EEEDF16_DF16_NS3_INS4_IJSA_SE_SG_SG_NSB_INS4_IJiNS7_IiLi128EEEEEELb0EEENSF_ISC_EEEEENS4_IJSJ_SK_SL_SZ_SP_S10_EEENS4_IJSN_SO_SP_NSI_IJLi6EEEENSI_IJLi7ELi8EEEENSI_IJLi9EEEEEEENSI_IJLi6ELi7ELi8ELi9EEEElEENS3_INS4_IJSU_SE_SG_SG_S1D_S1E_EEENS4_IJSJ_SL_SK_SZ_SP_S10_EEES1K_S1L_lEENS3_INS4_IJSU_SG_SG_NSB_INS4_IJiSC_NS7_IiLi64EEEEEELb0EEES1S_EEENS4_IJSJ_SL_SK_SZ_S10_EEENS4_IJSN_SZ_S10_NSI_IJLi5ELi6ELi7EEEENSI_IJLi8ELi9ELi10EEEEEEENSI_IJLi5ELi6ELi7ELi8ELi9ELi10EEEElEENS_31BlockToCTileMap_M00_N00_M01_N01ILi128ELi128ES12_Lb0EEELb0ELb1EEEvPKT0_S24_PT1_T2_T3_T4_T5_
		.amdhsa_group_segment_fixed_size 32768
		.amdhsa_private_segment_fixed_size 0
		.amdhsa_kernarg_size 328
		.amdhsa_user_sgpr_count 2
		.amdhsa_user_sgpr_dispatch_ptr 0
		.amdhsa_user_sgpr_queue_ptr 0
		.amdhsa_user_sgpr_kernarg_segment_ptr 1
		.amdhsa_user_sgpr_dispatch_id 0
		.amdhsa_user_sgpr_private_segment_size 0
		.amdhsa_wavefront_size32 1
		.amdhsa_uses_dynamic_stack 0
		.amdhsa_enable_private_segment 0
		.amdhsa_system_sgpr_workgroup_id_x 1
		.amdhsa_system_sgpr_workgroup_id_y 0
		.amdhsa_system_sgpr_workgroup_id_z 0
		.amdhsa_system_sgpr_workgroup_info 0
		.amdhsa_system_vgpr_workitem_id 0
		.amdhsa_next_free_vgpr 189
		.amdhsa_next_free_sgpr 29
		.amdhsa_reserve_vcc 0
		.amdhsa_float_round_mode_32 0
		.amdhsa_float_round_mode_16_64 0
		.amdhsa_float_denorm_mode_32 3
		.amdhsa_float_denorm_mode_16_64 3
		.amdhsa_fp16_overflow 0
		.amdhsa_workgroup_processor_mode 1
		.amdhsa_memory_ordered 1
		.amdhsa_forward_progress 1
		.amdhsa_inst_pref_size 156
		.amdhsa_round_robin_scheduling 0
		.amdhsa_exception_fp_ieee_invalid_op 0
		.amdhsa_exception_fp_denorm_src 0
		.amdhsa_exception_fp_ieee_div_zero 0
		.amdhsa_exception_fp_ieee_overflow 0
		.amdhsa_exception_fp_ieee_underflow 0
		.amdhsa_exception_fp_ieee_inexact 0
		.amdhsa_exception_int_div_zero 0
	.end_amdhsa_kernel
	.section	.text._ZN2ck19kernel_gemm_dl_v1r3INS_28GridwiseGemmDl_km_kn_mn_v1r3ILi256EDF16_fDF16_LNS_25InMemoryDataOperationEnumE0ENS_16TensorDescriptorINS_5TupleIJNS_5EmbedINS4_IJiiEEENS4_IJNS_17integral_constantIiLi1EEEiEEELb0EEENS_7UnMergeINS4_IJiNS7_IiLi2EEEEEELb0EEENS_11PassThroughIiEEEEENS4_IJNS_8SequenceIJLi0EEEENSI_IJLi2EEEENSI_IJLi1EEEEEEENS4_IJNSI_IJLi1ELi2EEEENSI_IJLi3ELi4EEEENSI_IJLi5EEEEEEENSI_IJLi3ELi5ELi4EEEElEENS3_INS4_IJNS5_IS6_NS4_IJiS8_EEELb0EEESE_SG_EEENS4_IJSJ_SL_SK_EEESQ_SR_lEENS3_INS4_IJSU_SG_SG_EEESW_NS4_IJSN_NSI_IJLi3EEEENSI_IJLi4EEEEEEESO_lEELi128ELi128ELi16ELi2ELi4ELi4ELi1ENSI_IJLi8ELi2EEEES13_NSI_IJLi2ELi1ELi4ELi2EEEENSI_IJLi8ELi1ELi32ELi1EEEENSI_IJLi0ELi3ELi1ELi2EEEES16_NSI_IJLi1ELi1ELi4ELi1EEEES16_NSI_IJLi1ELi1ELi4ELi2EEEES14_S15_S16_S16_S17_S16_S18_NSI_IJLi0ELi1ELi2ELi3ELi4ELi5EEEELi5ELi4EEEDF16_DF16_NS3_INS4_IJSA_SE_SG_SG_NSB_INS4_IJiNS7_IiLi128EEEEEELb0EEENSF_ISC_EEEEENS4_IJSJ_SK_SL_SZ_SP_S10_EEENS4_IJSN_SO_SP_NSI_IJLi6EEEENSI_IJLi7ELi8EEEENSI_IJLi9EEEEEEENSI_IJLi6ELi7ELi8ELi9EEEElEENS3_INS4_IJSU_SE_SG_SG_S1D_S1E_EEENS4_IJSJ_SL_SK_SZ_SP_S10_EEES1K_S1L_lEENS3_INS4_IJSU_SG_SG_NSB_INS4_IJiSC_NS7_IiLi64EEEEEELb0EEES1S_EEENS4_IJSJ_SL_SK_SZ_S10_EEENS4_IJSN_SZ_S10_NSI_IJLi5ELi6ELi7EEEENSI_IJLi8ELi9ELi10EEEEEEENSI_IJLi5ELi6ELi7ELi8ELi9ELi10EEEElEENS_31BlockToCTileMap_M00_N00_M01_N01ILi128ELi128ES12_Lb0EEELb0ELb1EEEvPKT0_S24_PT1_T2_T3_T4_T5_,"axG",@progbits,_ZN2ck19kernel_gemm_dl_v1r3INS_28GridwiseGemmDl_km_kn_mn_v1r3ILi256EDF16_fDF16_LNS_25InMemoryDataOperationEnumE0ENS_16TensorDescriptorINS_5TupleIJNS_5EmbedINS4_IJiiEEENS4_IJNS_17integral_constantIiLi1EEEiEEELb0EEENS_7UnMergeINS4_IJiNS7_IiLi2EEEEEELb0EEENS_11PassThroughIiEEEEENS4_IJNS_8SequenceIJLi0EEEENSI_IJLi2EEEENSI_IJLi1EEEEEEENS4_IJNSI_IJLi1ELi2EEEENSI_IJLi3ELi4EEEENSI_IJLi5EEEEEEENSI_IJLi3ELi5ELi4EEEElEENS3_INS4_IJNS5_IS6_NS4_IJiS8_EEELb0EEESE_SG_EEENS4_IJSJ_SL_SK_EEESQ_SR_lEENS3_INS4_IJSU_SG_SG_EEESW_NS4_IJSN_NSI_IJLi3EEEENSI_IJLi4EEEEEEESO_lEELi128ELi128ELi16ELi2ELi4ELi4ELi1ENSI_IJLi8ELi2EEEES13_NSI_IJLi2ELi1ELi4ELi2EEEENSI_IJLi8ELi1ELi32ELi1EEEENSI_IJLi0ELi3ELi1ELi2EEEES16_NSI_IJLi1ELi1ELi4ELi1EEEES16_NSI_IJLi1ELi1ELi4ELi2EEEES14_S15_S16_S16_S17_S16_S18_NSI_IJLi0ELi1ELi2ELi3ELi4ELi5EEEELi5ELi4EEEDF16_DF16_NS3_INS4_IJSA_SE_SG_SG_NSB_INS4_IJiNS7_IiLi128EEEEEELb0EEENSF_ISC_EEEEENS4_IJSJ_SK_SL_SZ_SP_S10_EEENS4_IJSN_SO_SP_NSI_IJLi6EEEENSI_IJLi7ELi8EEEENSI_IJLi9EEEEEEENSI_IJLi6ELi7ELi8ELi9EEEElEENS3_INS4_IJSU_SE_SG_SG_S1D_S1E_EEENS4_IJSJ_SL_SK_SZ_SP_S10_EEES1K_S1L_lEENS3_INS4_IJSU_SG_SG_NSB_INS4_IJiSC_NS7_IiLi64EEEEEELb0EEES1S_EEENS4_IJSJ_SL_SK_SZ_S10_EEENS4_IJSN_SZ_S10_NSI_IJLi5ELi6ELi7EEEENSI_IJLi8ELi9ELi10EEEEEEENSI_IJLi5ELi6ELi7ELi8ELi9ELi10EEEElEENS_31BlockToCTileMap_M00_N00_M01_N01ILi128ELi128ES12_Lb0EEELb0ELb1EEEvPKT0_S24_PT1_T2_T3_T4_T5_,comdat
.Lfunc_end3:
	.size	_ZN2ck19kernel_gemm_dl_v1r3INS_28GridwiseGemmDl_km_kn_mn_v1r3ILi256EDF16_fDF16_LNS_25InMemoryDataOperationEnumE0ENS_16TensorDescriptorINS_5TupleIJNS_5EmbedINS4_IJiiEEENS4_IJNS_17integral_constantIiLi1EEEiEEELb0EEENS_7UnMergeINS4_IJiNS7_IiLi2EEEEEELb0EEENS_11PassThroughIiEEEEENS4_IJNS_8SequenceIJLi0EEEENSI_IJLi2EEEENSI_IJLi1EEEEEEENS4_IJNSI_IJLi1ELi2EEEENSI_IJLi3ELi4EEEENSI_IJLi5EEEEEEENSI_IJLi3ELi5ELi4EEEElEENS3_INS4_IJNS5_IS6_NS4_IJiS8_EEELb0EEESE_SG_EEENS4_IJSJ_SL_SK_EEESQ_SR_lEENS3_INS4_IJSU_SG_SG_EEESW_NS4_IJSN_NSI_IJLi3EEEENSI_IJLi4EEEEEEESO_lEELi128ELi128ELi16ELi2ELi4ELi4ELi1ENSI_IJLi8ELi2EEEES13_NSI_IJLi2ELi1ELi4ELi2EEEENSI_IJLi8ELi1ELi32ELi1EEEENSI_IJLi0ELi3ELi1ELi2EEEES16_NSI_IJLi1ELi1ELi4ELi1EEEES16_NSI_IJLi1ELi1ELi4ELi2EEEES14_S15_S16_S16_S17_S16_S18_NSI_IJLi0ELi1ELi2ELi3ELi4ELi5EEEELi5ELi4EEEDF16_DF16_NS3_INS4_IJSA_SE_SG_SG_NSB_INS4_IJiNS7_IiLi128EEEEEELb0EEENSF_ISC_EEEEENS4_IJSJ_SK_SL_SZ_SP_S10_EEENS4_IJSN_SO_SP_NSI_IJLi6EEEENSI_IJLi7ELi8EEEENSI_IJLi9EEEEEEENSI_IJLi6ELi7ELi8ELi9EEEElEENS3_INS4_IJSU_SE_SG_SG_S1D_S1E_EEENS4_IJSJ_SL_SK_SZ_SP_S10_EEES1K_S1L_lEENS3_INS4_IJSU_SG_SG_NSB_INS4_IJiSC_NS7_IiLi64EEEEEELb0EEES1S_EEENS4_IJSJ_SL_SK_SZ_S10_EEENS4_IJSN_SZ_S10_NSI_IJLi5ELi6ELi7EEEENSI_IJLi8ELi9ELi10EEEEEEENSI_IJLi5ELi6ELi7ELi8ELi9ELi10EEEElEENS_31BlockToCTileMap_M00_N00_M01_N01ILi128ELi128ES12_Lb0EEELb0ELb1EEEvPKT0_S24_PT1_T2_T3_T4_T5_, .Lfunc_end3-_ZN2ck19kernel_gemm_dl_v1r3INS_28GridwiseGemmDl_km_kn_mn_v1r3ILi256EDF16_fDF16_LNS_25InMemoryDataOperationEnumE0ENS_16TensorDescriptorINS_5TupleIJNS_5EmbedINS4_IJiiEEENS4_IJNS_17integral_constantIiLi1EEEiEEELb0EEENS_7UnMergeINS4_IJiNS7_IiLi2EEEEEELb0EEENS_11PassThroughIiEEEEENS4_IJNS_8SequenceIJLi0EEEENSI_IJLi2EEEENSI_IJLi1EEEEEEENS4_IJNSI_IJLi1ELi2EEEENSI_IJLi3ELi4EEEENSI_IJLi5EEEEEEENSI_IJLi3ELi5ELi4EEEElEENS3_INS4_IJNS5_IS6_NS4_IJiS8_EEELb0EEESE_SG_EEENS4_IJSJ_SL_SK_EEESQ_SR_lEENS3_INS4_IJSU_SG_SG_EEESW_NS4_IJSN_NSI_IJLi3EEEENSI_IJLi4EEEEEEESO_lEELi128ELi128ELi16ELi2ELi4ELi4ELi1ENSI_IJLi8ELi2EEEES13_NSI_IJLi2ELi1ELi4ELi2EEEENSI_IJLi8ELi1ELi32ELi1EEEENSI_IJLi0ELi3ELi1ELi2EEEES16_NSI_IJLi1ELi1ELi4ELi1EEEES16_NSI_IJLi1ELi1ELi4ELi2EEEES14_S15_S16_S16_S17_S16_S18_NSI_IJLi0ELi1ELi2ELi3ELi4ELi5EEEELi5ELi4EEEDF16_DF16_NS3_INS4_IJSA_SE_SG_SG_NSB_INS4_IJiNS7_IiLi128EEEEEELb0EEENSF_ISC_EEEEENS4_IJSJ_SK_SL_SZ_SP_S10_EEENS4_IJSN_SO_SP_NSI_IJLi6EEEENSI_IJLi7ELi8EEEENSI_IJLi9EEEEEEENSI_IJLi6ELi7ELi8ELi9EEEElEENS3_INS4_IJSU_SE_SG_SG_S1D_S1E_EEENS4_IJSJ_SL_SK_SZ_SP_S10_EEES1K_S1L_lEENS3_INS4_IJSU_SG_SG_NSB_INS4_IJiSC_NS7_IiLi64EEEEEELb0EEES1S_EEENS4_IJSJ_SL_SK_SZ_S10_EEENS4_IJSN_SZ_S10_NSI_IJLi5ELi6ELi7EEEENSI_IJLi8ELi9ELi10EEEEEEENSI_IJLi5ELi6ELi7ELi8ELi9ELi10EEEElEENS_31BlockToCTileMap_M00_N00_M01_N01ILi128ELi128ES12_Lb0EEELb0ELb1EEEvPKT0_S24_PT1_T2_T3_T4_T5_
                                        ; -- End function
	.set _ZN2ck19kernel_gemm_dl_v1r3INS_28GridwiseGemmDl_km_kn_mn_v1r3ILi256EDF16_fDF16_LNS_25InMemoryDataOperationEnumE0ENS_16TensorDescriptorINS_5TupleIJNS_5EmbedINS4_IJiiEEENS4_IJNS_17integral_constantIiLi1EEEiEEELb0EEENS_7UnMergeINS4_IJiNS7_IiLi2EEEEEELb0EEENS_11PassThroughIiEEEEENS4_IJNS_8SequenceIJLi0EEEENSI_IJLi2EEEENSI_IJLi1EEEEEEENS4_IJNSI_IJLi1ELi2EEEENSI_IJLi3ELi4EEEENSI_IJLi5EEEEEEENSI_IJLi3ELi5ELi4EEEElEENS3_INS4_IJNS5_IS6_NS4_IJiS8_EEELb0EEESE_SG_EEENS4_IJSJ_SL_SK_EEESQ_SR_lEENS3_INS4_IJSU_SG_SG_EEESW_NS4_IJSN_NSI_IJLi3EEEENSI_IJLi4EEEEEEESO_lEELi128ELi128ELi16ELi2ELi4ELi4ELi1ENSI_IJLi8ELi2EEEES13_NSI_IJLi2ELi1ELi4ELi2EEEENSI_IJLi8ELi1ELi32ELi1EEEENSI_IJLi0ELi3ELi1ELi2EEEES16_NSI_IJLi1ELi1ELi4ELi1EEEES16_NSI_IJLi1ELi1ELi4ELi2EEEES14_S15_S16_S16_S17_S16_S18_NSI_IJLi0ELi1ELi2ELi3ELi4ELi5EEEELi5ELi4EEEDF16_DF16_NS3_INS4_IJSA_SE_SG_SG_NSB_INS4_IJiNS7_IiLi128EEEEEELb0EEENSF_ISC_EEEEENS4_IJSJ_SK_SL_SZ_SP_S10_EEENS4_IJSN_SO_SP_NSI_IJLi6EEEENSI_IJLi7ELi8EEEENSI_IJLi9EEEEEEENSI_IJLi6ELi7ELi8ELi9EEEElEENS3_INS4_IJSU_SE_SG_SG_S1D_S1E_EEENS4_IJSJ_SL_SK_SZ_SP_S10_EEES1K_S1L_lEENS3_INS4_IJSU_SG_SG_NSB_INS4_IJiSC_NS7_IiLi64EEEEEELb0EEES1S_EEENS4_IJSJ_SL_SK_SZ_S10_EEENS4_IJSN_SZ_S10_NSI_IJLi5ELi6ELi7EEEENSI_IJLi8ELi9ELi10EEEEEEENSI_IJLi5ELi6ELi7ELi8ELi9ELi10EEEElEENS_31BlockToCTileMap_M00_N00_M01_N01ILi128ELi128ES12_Lb0EEELb0ELb1EEEvPKT0_S24_PT1_T2_T3_T4_T5_.num_vgpr, 189
	.set _ZN2ck19kernel_gemm_dl_v1r3INS_28GridwiseGemmDl_km_kn_mn_v1r3ILi256EDF16_fDF16_LNS_25InMemoryDataOperationEnumE0ENS_16TensorDescriptorINS_5TupleIJNS_5EmbedINS4_IJiiEEENS4_IJNS_17integral_constantIiLi1EEEiEEELb0EEENS_7UnMergeINS4_IJiNS7_IiLi2EEEEEELb0EEENS_11PassThroughIiEEEEENS4_IJNS_8SequenceIJLi0EEEENSI_IJLi2EEEENSI_IJLi1EEEEEEENS4_IJNSI_IJLi1ELi2EEEENSI_IJLi3ELi4EEEENSI_IJLi5EEEEEEENSI_IJLi3ELi5ELi4EEEElEENS3_INS4_IJNS5_IS6_NS4_IJiS8_EEELb0EEESE_SG_EEENS4_IJSJ_SL_SK_EEESQ_SR_lEENS3_INS4_IJSU_SG_SG_EEESW_NS4_IJSN_NSI_IJLi3EEEENSI_IJLi4EEEEEEESO_lEELi128ELi128ELi16ELi2ELi4ELi4ELi1ENSI_IJLi8ELi2EEEES13_NSI_IJLi2ELi1ELi4ELi2EEEENSI_IJLi8ELi1ELi32ELi1EEEENSI_IJLi0ELi3ELi1ELi2EEEES16_NSI_IJLi1ELi1ELi4ELi1EEEES16_NSI_IJLi1ELi1ELi4ELi2EEEES14_S15_S16_S16_S17_S16_S18_NSI_IJLi0ELi1ELi2ELi3ELi4ELi5EEEELi5ELi4EEEDF16_DF16_NS3_INS4_IJSA_SE_SG_SG_NSB_INS4_IJiNS7_IiLi128EEEEEELb0EEENSF_ISC_EEEEENS4_IJSJ_SK_SL_SZ_SP_S10_EEENS4_IJSN_SO_SP_NSI_IJLi6EEEENSI_IJLi7ELi8EEEENSI_IJLi9EEEEEEENSI_IJLi6ELi7ELi8ELi9EEEElEENS3_INS4_IJSU_SE_SG_SG_S1D_S1E_EEENS4_IJSJ_SL_SK_SZ_SP_S10_EEES1K_S1L_lEENS3_INS4_IJSU_SG_SG_NSB_INS4_IJiSC_NS7_IiLi64EEEEEELb0EEES1S_EEENS4_IJSJ_SL_SK_SZ_S10_EEENS4_IJSN_SZ_S10_NSI_IJLi5ELi6ELi7EEEENSI_IJLi8ELi9ELi10EEEEEEENSI_IJLi5ELi6ELi7ELi8ELi9ELi10EEEElEENS_31BlockToCTileMap_M00_N00_M01_N01ILi128ELi128ES12_Lb0EEELb0ELb1EEEvPKT0_S24_PT1_T2_T3_T4_T5_.num_agpr, 0
	.set _ZN2ck19kernel_gemm_dl_v1r3INS_28GridwiseGemmDl_km_kn_mn_v1r3ILi256EDF16_fDF16_LNS_25InMemoryDataOperationEnumE0ENS_16TensorDescriptorINS_5TupleIJNS_5EmbedINS4_IJiiEEENS4_IJNS_17integral_constantIiLi1EEEiEEELb0EEENS_7UnMergeINS4_IJiNS7_IiLi2EEEEEELb0EEENS_11PassThroughIiEEEEENS4_IJNS_8SequenceIJLi0EEEENSI_IJLi2EEEENSI_IJLi1EEEEEEENS4_IJNSI_IJLi1ELi2EEEENSI_IJLi3ELi4EEEENSI_IJLi5EEEEEEENSI_IJLi3ELi5ELi4EEEElEENS3_INS4_IJNS5_IS6_NS4_IJiS8_EEELb0EEESE_SG_EEENS4_IJSJ_SL_SK_EEESQ_SR_lEENS3_INS4_IJSU_SG_SG_EEESW_NS4_IJSN_NSI_IJLi3EEEENSI_IJLi4EEEEEEESO_lEELi128ELi128ELi16ELi2ELi4ELi4ELi1ENSI_IJLi8ELi2EEEES13_NSI_IJLi2ELi1ELi4ELi2EEEENSI_IJLi8ELi1ELi32ELi1EEEENSI_IJLi0ELi3ELi1ELi2EEEES16_NSI_IJLi1ELi1ELi4ELi1EEEES16_NSI_IJLi1ELi1ELi4ELi2EEEES14_S15_S16_S16_S17_S16_S18_NSI_IJLi0ELi1ELi2ELi3ELi4ELi5EEEELi5ELi4EEEDF16_DF16_NS3_INS4_IJSA_SE_SG_SG_NSB_INS4_IJiNS7_IiLi128EEEEEELb0EEENSF_ISC_EEEEENS4_IJSJ_SK_SL_SZ_SP_S10_EEENS4_IJSN_SO_SP_NSI_IJLi6EEEENSI_IJLi7ELi8EEEENSI_IJLi9EEEEEEENSI_IJLi6ELi7ELi8ELi9EEEElEENS3_INS4_IJSU_SE_SG_SG_S1D_S1E_EEENS4_IJSJ_SL_SK_SZ_SP_S10_EEES1K_S1L_lEENS3_INS4_IJSU_SG_SG_NSB_INS4_IJiSC_NS7_IiLi64EEEEEELb0EEES1S_EEENS4_IJSJ_SL_SK_SZ_S10_EEENS4_IJSN_SZ_S10_NSI_IJLi5ELi6ELi7EEEENSI_IJLi8ELi9ELi10EEEEEEENSI_IJLi5ELi6ELi7ELi8ELi9ELi10EEEElEENS_31BlockToCTileMap_M00_N00_M01_N01ILi128ELi128ES12_Lb0EEELb0ELb1EEEvPKT0_S24_PT1_T2_T3_T4_T5_.numbered_sgpr, 29
	.set _ZN2ck19kernel_gemm_dl_v1r3INS_28GridwiseGemmDl_km_kn_mn_v1r3ILi256EDF16_fDF16_LNS_25InMemoryDataOperationEnumE0ENS_16TensorDescriptorINS_5TupleIJNS_5EmbedINS4_IJiiEEENS4_IJNS_17integral_constantIiLi1EEEiEEELb0EEENS_7UnMergeINS4_IJiNS7_IiLi2EEEEEELb0EEENS_11PassThroughIiEEEEENS4_IJNS_8SequenceIJLi0EEEENSI_IJLi2EEEENSI_IJLi1EEEEEEENS4_IJNSI_IJLi1ELi2EEEENSI_IJLi3ELi4EEEENSI_IJLi5EEEEEEENSI_IJLi3ELi5ELi4EEEElEENS3_INS4_IJNS5_IS6_NS4_IJiS8_EEELb0EEESE_SG_EEENS4_IJSJ_SL_SK_EEESQ_SR_lEENS3_INS4_IJSU_SG_SG_EEESW_NS4_IJSN_NSI_IJLi3EEEENSI_IJLi4EEEEEEESO_lEELi128ELi128ELi16ELi2ELi4ELi4ELi1ENSI_IJLi8ELi2EEEES13_NSI_IJLi2ELi1ELi4ELi2EEEENSI_IJLi8ELi1ELi32ELi1EEEENSI_IJLi0ELi3ELi1ELi2EEEES16_NSI_IJLi1ELi1ELi4ELi1EEEES16_NSI_IJLi1ELi1ELi4ELi2EEEES14_S15_S16_S16_S17_S16_S18_NSI_IJLi0ELi1ELi2ELi3ELi4ELi5EEEELi5ELi4EEEDF16_DF16_NS3_INS4_IJSA_SE_SG_SG_NSB_INS4_IJiNS7_IiLi128EEEEEELb0EEENSF_ISC_EEEEENS4_IJSJ_SK_SL_SZ_SP_S10_EEENS4_IJSN_SO_SP_NSI_IJLi6EEEENSI_IJLi7ELi8EEEENSI_IJLi9EEEEEEENSI_IJLi6ELi7ELi8ELi9EEEElEENS3_INS4_IJSU_SE_SG_SG_S1D_S1E_EEENS4_IJSJ_SL_SK_SZ_SP_S10_EEES1K_S1L_lEENS3_INS4_IJSU_SG_SG_NSB_INS4_IJiSC_NS7_IiLi64EEEEEELb0EEES1S_EEENS4_IJSJ_SL_SK_SZ_S10_EEENS4_IJSN_SZ_S10_NSI_IJLi5ELi6ELi7EEEENSI_IJLi8ELi9ELi10EEEEEEENSI_IJLi5ELi6ELi7ELi8ELi9ELi10EEEElEENS_31BlockToCTileMap_M00_N00_M01_N01ILi128ELi128ES12_Lb0EEELb0ELb1EEEvPKT0_S24_PT1_T2_T3_T4_T5_.num_named_barrier, 0
	.set _ZN2ck19kernel_gemm_dl_v1r3INS_28GridwiseGemmDl_km_kn_mn_v1r3ILi256EDF16_fDF16_LNS_25InMemoryDataOperationEnumE0ENS_16TensorDescriptorINS_5TupleIJNS_5EmbedINS4_IJiiEEENS4_IJNS_17integral_constantIiLi1EEEiEEELb0EEENS_7UnMergeINS4_IJiNS7_IiLi2EEEEEELb0EEENS_11PassThroughIiEEEEENS4_IJNS_8SequenceIJLi0EEEENSI_IJLi2EEEENSI_IJLi1EEEEEEENS4_IJNSI_IJLi1ELi2EEEENSI_IJLi3ELi4EEEENSI_IJLi5EEEEEEENSI_IJLi3ELi5ELi4EEEElEENS3_INS4_IJNS5_IS6_NS4_IJiS8_EEELb0EEESE_SG_EEENS4_IJSJ_SL_SK_EEESQ_SR_lEENS3_INS4_IJSU_SG_SG_EEESW_NS4_IJSN_NSI_IJLi3EEEENSI_IJLi4EEEEEEESO_lEELi128ELi128ELi16ELi2ELi4ELi4ELi1ENSI_IJLi8ELi2EEEES13_NSI_IJLi2ELi1ELi4ELi2EEEENSI_IJLi8ELi1ELi32ELi1EEEENSI_IJLi0ELi3ELi1ELi2EEEES16_NSI_IJLi1ELi1ELi4ELi1EEEES16_NSI_IJLi1ELi1ELi4ELi2EEEES14_S15_S16_S16_S17_S16_S18_NSI_IJLi0ELi1ELi2ELi3ELi4ELi5EEEELi5ELi4EEEDF16_DF16_NS3_INS4_IJSA_SE_SG_SG_NSB_INS4_IJiNS7_IiLi128EEEEEELb0EEENSF_ISC_EEEEENS4_IJSJ_SK_SL_SZ_SP_S10_EEENS4_IJSN_SO_SP_NSI_IJLi6EEEENSI_IJLi7ELi8EEEENSI_IJLi9EEEEEEENSI_IJLi6ELi7ELi8ELi9EEEElEENS3_INS4_IJSU_SE_SG_SG_S1D_S1E_EEENS4_IJSJ_SL_SK_SZ_SP_S10_EEES1K_S1L_lEENS3_INS4_IJSU_SG_SG_NSB_INS4_IJiSC_NS7_IiLi64EEEEEELb0EEES1S_EEENS4_IJSJ_SL_SK_SZ_S10_EEENS4_IJSN_SZ_S10_NSI_IJLi5ELi6ELi7EEEENSI_IJLi8ELi9ELi10EEEEEEENSI_IJLi5ELi6ELi7ELi8ELi9ELi10EEEElEENS_31BlockToCTileMap_M00_N00_M01_N01ILi128ELi128ES12_Lb0EEELb0ELb1EEEvPKT0_S24_PT1_T2_T3_T4_T5_.private_seg_size, 0
	.set _ZN2ck19kernel_gemm_dl_v1r3INS_28GridwiseGemmDl_km_kn_mn_v1r3ILi256EDF16_fDF16_LNS_25InMemoryDataOperationEnumE0ENS_16TensorDescriptorINS_5TupleIJNS_5EmbedINS4_IJiiEEENS4_IJNS_17integral_constantIiLi1EEEiEEELb0EEENS_7UnMergeINS4_IJiNS7_IiLi2EEEEEELb0EEENS_11PassThroughIiEEEEENS4_IJNS_8SequenceIJLi0EEEENSI_IJLi2EEEENSI_IJLi1EEEEEEENS4_IJNSI_IJLi1ELi2EEEENSI_IJLi3ELi4EEEENSI_IJLi5EEEEEEENSI_IJLi3ELi5ELi4EEEElEENS3_INS4_IJNS5_IS6_NS4_IJiS8_EEELb0EEESE_SG_EEENS4_IJSJ_SL_SK_EEESQ_SR_lEENS3_INS4_IJSU_SG_SG_EEESW_NS4_IJSN_NSI_IJLi3EEEENSI_IJLi4EEEEEEESO_lEELi128ELi128ELi16ELi2ELi4ELi4ELi1ENSI_IJLi8ELi2EEEES13_NSI_IJLi2ELi1ELi4ELi2EEEENSI_IJLi8ELi1ELi32ELi1EEEENSI_IJLi0ELi3ELi1ELi2EEEES16_NSI_IJLi1ELi1ELi4ELi1EEEES16_NSI_IJLi1ELi1ELi4ELi2EEEES14_S15_S16_S16_S17_S16_S18_NSI_IJLi0ELi1ELi2ELi3ELi4ELi5EEEELi5ELi4EEEDF16_DF16_NS3_INS4_IJSA_SE_SG_SG_NSB_INS4_IJiNS7_IiLi128EEEEEELb0EEENSF_ISC_EEEEENS4_IJSJ_SK_SL_SZ_SP_S10_EEENS4_IJSN_SO_SP_NSI_IJLi6EEEENSI_IJLi7ELi8EEEENSI_IJLi9EEEEEEENSI_IJLi6ELi7ELi8ELi9EEEElEENS3_INS4_IJSU_SE_SG_SG_S1D_S1E_EEENS4_IJSJ_SL_SK_SZ_SP_S10_EEES1K_S1L_lEENS3_INS4_IJSU_SG_SG_NSB_INS4_IJiSC_NS7_IiLi64EEEEEELb0EEES1S_EEENS4_IJSJ_SL_SK_SZ_S10_EEENS4_IJSN_SZ_S10_NSI_IJLi5ELi6ELi7EEEENSI_IJLi8ELi9ELi10EEEEEEENSI_IJLi5ELi6ELi7ELi8ELi9ELi10EEEElEENS_31BlockToCTileMap_M00_N00_M01_N01ILi128ELi128ES12_Lb0EEELb0ELb1EEEvPKT0_S24_PT1_T2_T3_T4_T5_.uses_vcc, 0
	.set _ZN2ck19kernel_gemm_dl_v1r3INS_28GridwiseGemmDl_km_kn_mn_v1r3ILi256EDF16_fDF16_LNS_25InMemoryDataOperationEnumE0ENS_16TensorDescriptorINS_5TupleIJNS_5EmbedINS4_IJiiEEENS4_IJNS_17integral_constantIiLi1EEEiEEELb0EEENS_7UnMergeINS4_IJiNS7_IiLi2EEEEEELb0EEENS_11PassThroughIiEEEEENS4_IJNS_8SequenceIJLi0EEEENSI_IJLi2EEEENSI_IJLi1EEEEEEENS4_IJNSI_IJLi1ELi2EEEENSI_IJLi3ELi4EEEENSI_IJLi5EEEEEEENSI_IJLi3ELi5ELi4EEEElEENS3_INS4_IJNS5_IS6_NS4_IJiS8_EEELb0EEESE_SG_EEENS4_IJSJ_SL_SK_EEESQ_SR_lEENS3_INS4_IJSU_SG_SG_EEESW_NS4_IJSN_NSI_IJLi3EEEENSI_IJLi4EEEEEEESO_lEELi128ELi128ELi16ELi2ELi4ELi4ELi1ENSI_IJLi8ELi2EEEES13_NSI_IJLi2ELi1ELi4ELi2EEEENSI_IJLi8ELi1ELi32ELi1EEEENSI_IJLi0ELi3ELi1ELi2EEEES16_NSI_IJLi1ELi1ELi4ELi1EEEES16_NSI_IJLi1ELi1ELi4ELi2EEEES14_S15_S16_S16_S17_S16_S18_NSI_IJLi0ELi1ELi2ELi3ELi4ELi5EEEELi5ELi4EEEDF16_DF16_NS3_INS4_IJSA_SE_SG_SG_NSB_INS4_IJiNS7_IiLi128EEEEEELb0EEENSF_ISC_EEEEENS4_IJSJ_SK_SL_SZ_SP_S10_EEENS4_IJSN_SO_SP_NSI_IJLi6EEEENSI_IJLi7ELi8EEEENSI_IJLi9EEEEEEENSI_IJLi6ELi7ELi8ELi9EEEElEENS3_INS4_IJSU_SE_SG_SG_S1D_S1E_EEENS4_IJSJ_SL_SK_SZ_SP_S10_EEES1K_S1L_lEENS3_INS4_IJSU_SG_SG_NSB_INS4_IJiSC_NS7_IiLi64EEEEEELb0EEES1S_EEENS4_IJSJ_SL_SK_SZ_S10_EEENS4_IJSN_SZ_S10_NSI_IJLi5ELi6ELi7EEEENSI_IJLi8ELi9ELi10EEEEEEENSI_IJLi5ELi6ELi7ELi8ELi9ELi10EEEElEENS_31BlockToCTileMap_M00_N00_M01_N01ILi128ELi128ES12_Lb0EEELb0ELb1EEEvPKT0_S24_PT1_T2_T3_T4_T5_.uses_flat_scratch, 0
	.set _ZN2ck19kernel_gemm_dl_v1r3INS_28GridwiseGemmDl_km_kn_mn_v1r3ILi256EDF16_fDF16_LNS_25InMemoryDataOperationEnumE0ENS_16TensorDescriptorINS_5TupleIJNS_5EmbedINS4_IJiiEEENS4_IJNS_17integral_constantIiLi1EEEiEEELb0EEENS_7UnMergeINS4_IJiNS7_IiLi2EEEEEELb0EEENS_11PassThroughIiEEEEENS4_IJNS_8SequenceIJLi0EEEENSI_IJLi2EEEENSI_IJLi1EEEEEEENS4_IJNSI_IJLi1ELi2EEEENSI_IJLi3ELi4EEEENSI_IJLi5EEEEEEENSI_IJLi3ELi5ELi4EEEElEENS3_INS4_IJNS5_IS6_NS4_IJiS8_EEELb0EEESE_SG_EEENS4_IJSJ_SL_SK_EEESQ_SR_lEENS3_INS4_IJSU_SG_SG_EEESW_NS4_IJSN_NSI_IJLi3EEEENSI_IJLi4EEEEEEESO_lEELi128ELi128ELi16ELi2ELi4ELi4ELi1ENSI_IJLi8ELi2EEEES13_NSI_IJLi2ELi1ELi4ELi2EEEENSI_IJLi8ELi1ELi32ELi1EEEENSI_IJLi0ELi3ELi1ELi2EEEES16_NSI_IJLi1ELi1ELi4ELi1EEEES16_NSI_IJLi1ELi1ELi4ELi2EEEES14_S15_S16_S16_S17_S16_S18_NSI_IJLi0ELi1ELi2ELi3ELi4ELi5EEEELi5ELi4EEEDF16_DF16_NS3_INS4_IJSA_SE_SG_SG_NSB_INS4_IJiNS7_IiLi128EEEEEELb0EEENSF_ISC_EEEEENS4_IJSJ_SK_SL_SZ_SP_S10_EEENS4_IJSN_SO_SP_NSI_IJLi6EEEENSI_IJLi7ELi8EEEENSI_IJLi9EEEEEEENSI_IJLi6ELi7ELi8ELi9EEEElEENS3_INS4_IJSU_SE_SG_SG_S1D_S1E_EEENS4_IJSJ_SL_SK_SZ_SP_S10_EEES1K_S1L_lEENS3_INS4_IJSU_SG_SG_NSB_INS4_IJiSC_NS7_IiLi64EEEEEELb0EEES1S_EEENS4_IJSJ_SL_SK_SZ_S10_EEENS4_IJSN_SZ_S10_NSI_IJLi5ELi6ELi7EEEENSI_IJLi8ELi9ELi10EEEEEEENSI_IJLi5ELi6ELi7ELi8ELi9ELi10EEEElEENS_31BlockToCTileMap_M00_N00_M01_N01ILi128ELi128ES12_Lb0EEELb0ELb1EEEvPKT0_S24_PT1_T2_T3_T4_T5_.has_dyn_sized_stack, 0
	.set _ZN2ck19kernel_gemm_dl_v1r3INS_28GridwiseGemmDl_km_kn_mn_v1r3ILi256EDF16_fDF16_LNS_25InMemoryDataOperationEnumE0ENS_16TensorDescriptorINS_5TupleIJNS_5EmbedINS4_IJiiEEENS4_IJNS_17integral_constantIiLi1EEEiEEELb0EEENS_7UnMergeINS4_IJiNS7_IiLi2EEEEEELb0EEENS_11PassThroughIiEEEEENS4_IJNS_8SequenceIJLi0EEEENSI_IJLi2EEEENSI_IJLi1EEEEEEENS4_IJNSI_IJLi1ELi2EEEENSI_IJLi3ELi4EEEENSI_IJLi5EEEEEEENSI_IJLi3ELi5ELi4EEEElEENS3_INS4_IJNS5_IS6_NS4_IJiS8_EEELb0EEESE_SG_EEENS4_IJSJ_SL_SK_EEESQ_SR_lEENS3_INS4_IJSU_SG_SG_EEESW_NS4_IJSN_NSI_IJLi3EEEENSI_IJLi4EEEEEEESO_lEELi128ELi128ELi16ELi2ELi4ELi4ELi1ENSI_IJLi8ELi2EEEES13_NSI_IJLi2ELi1ELi4ELi2EEEENSI_IJLi8ELi1ELi32ELi1EEEENSI_IJLi0ELi3ELi1ELi2EEEES16_NSI_IJLi1ELi1ELi4ELi1EEEES16_NSI_IJLi1ELi1ELi4ELi2EEEES14_S15_S16_S16_S17_S16_S18_NSI_IJLi0ELi1ELi2ELi3ELi4ELi5EEEELi5ELi4EEEDF16_DF16_NS3_INS4_IJSA_SE_SG_SG_NSB_INS4_IJiNS7_IiLi128EEEEEELb0EEENSF_ISC_EEEEENS4_IJSJ_SK_SL_SZ_SP_S10_EEENS4_IJSN_SO_SP_NSI_IJLi6EEEENSI_IJLi7ELi8EEEENSI_IJLi9EEEEEEENSI_IJLi6ELi7ELi8ELi9EEEElEENS3_INS4_IJSU_SE_SG_SG_S1D_S1E_EEENS4_IJSJ_SL_SK_SZ_SP_S10_EEES1K_S1L_lEENS3_INS4_IJSU_SG_SG_NSB_INS4_IJiSC_NS7_IiLi64EEEEEELb0EEES1S_EEENS4_IJSJ_SL_SK_SZ_S10_EEENS4_IJSN_SZ_S10_NSI_IJLi5ELi6ELi7EEEENSI_IJLi8ELi9ELi10EEEEEEENSI_IJLi5ELi6ELi7ELi8ELi9ELi10EEEElEENS_31BlockToCTileMap_M00_N00_M01_N01ILi128ELi128ES12_Lb0EEELb0ELb1EEEvPKT0_S24_PT1_T2_T3_T4_T5_.has_recursion, 0
	.set _ZN2ck19kernel_gemm_dl_v1r3INS_28GridwiseGemmDl_km_kn_mn_v1r3ILi256EDF16_fDF16_LNS_25InMemoryDataOperationEnumE0ENS_16TensorDescriptorINS_5TupleIJNS_5EmbedINS4_IJiiEEENS4_IJNS_17integral_constantIiLi1EEEiEEELb0EEENS_7UnMergeINS4_IJiNS7_IiLi2EEEEEELb0EEENS_11PassThroughIiEEEEENS4_IJNS_8SequenceIJLi0EEEENSI_IJLi2EEEENSI_IJLi1EEEEEEENS4_IJNSI_IJLi1ELi2EEEENSI_IJLi3ELi4EEEENSI_IJLi5EEEEEEENSI_IJLi3ELi5ELi4EEEElEENS3_INS4_IJNS5_IS6_NS4_IJiS8_EEELb0EEESE_SG_EEENS4_IJSJ_SL_SK_EEESQ_SR_lEENS3_INS4_IJSU_SG_SG_EEESW_NS4_IJSN_NSI_IJLi3EEEENSI_IJLi4EEEEEEESO_lEELi128ELi128ELi16ELi2ELi4ELi4ELi1ENSI_IJLi8ELi2EEEES13_NSI_IJLi2ELi1ELi4ELi2EEEENSI_IJLi8ELi1ELi32ELi1EEEENSI_IJLi0ELi3ELi1ELi2EEEES16_NSI_IJLi1ELi1ELi4ELi1EEEES16_NSI_IJLi1ELi1ELi4ELi2EEEES14_S15_S16_S16_S17_S16_S18_NSI_IJLi0ELi1ELi2ELi3ELi4ELi5EEEELi5ELi4EEEDF16_DF16_NS3_INS4_IJSA_SE_SG_SG_NSB_INS4_IJiNS7_IiLi128EEEEEELb0EEENSF_ISC_EEEEENS4_IJSJ_SK_SL_SZ_SP_S10_EEENS4_IJSN_SO_SP_NSI_IJLi6EEEENSI_IJLi7ELi8EEEENSI_IJLi9EEEEEEENSI_IJLi6ELi7ELi8ELi9EEEElEENS3_INS4_IJSU_SE_SG_SG_S1D_S1E_EEENS4_IJSJ_SL_SK_SZ_SP_S10_EEES1K_S1L_lEENS3_INS4_IJSU_SG_SG_NSB_INS4_IJiSC_NS7_IiLi64EEEEEELb0EEES1S_EEENS4_IJSJ_SL_SK_SZ_S10_EEENS4_IJSN_SZ_S10_NSI_IJLi5ELi6ELi7EEEENSI_IJLi8ELi9ELi10EEEEEEENSI_IJLi5ELi6ELi7ELi8ELi9ELi10EEEElEENS_31BlockToCTileMap_M00_N00_M01_N01ILi128ELi128ES12_Lb0EEELb0ELb1EEEvPKT0_S24_PT1_T2_T3_T4_T5_.has_indirect_call, 0
	.section	.AMDGPU.csdata,"",@progbits
; Kernel info:
; codeLenInByte = 19880
; TotalNumSgprs: 29
; NumVgprs: 189
; ScratchSize: 0
; MemoryBound: 0
; FloatMode: 240
; IeeeMode: 1
; LDSByteSize: 32768 bytes/workgroup (compile time only)
; SGPRBlocks: 0
; VGPRBlocks: 23
; NumSGPRsForWavesPerEU: 29
; NumVGPRsForWavesPerEU: 189
; Occupancy: 8
; WaveLimiterHint : 0
; COMPUTE_PGM_RSRC2:SCRATCH_EN: 0
; COMPUTE_PGM_RSRC2:USER_SGPR: 2
; COMPUTE_PGM_RSRC2:TRAP_HANDLER: 0
; COMPUTE_PGM_RSRC2:TGID_X_EN: 1
; COMPUTE_PGM_RSRC2:TGID_Y_EN: 0
; COMPUTE_PGM_RSRC2:TGID_Z_EN: 0
; COMPUTE_PGM_RSRC2:TIDIG_COMP_CNT: 0
	.section	.text._ZN2ck19kernel_gemm_dl_v1r3INS_28GridwiseGemmDl_km_kn_mn_v1r3ILi256EDF16_fDF16_LNS_25InMemoryDataOperationEnumE0ENS_16TensorDescriptorINS_5TupleIJNS_5EmbedINS4_IJiiEEENS4_IJNS_17integral_constantIiLi1EEEiEEELb0EEENS_7UnMergeINS4_IJiNS7_IiLi2EEEEEELb0EEENS_11PassThroughIiEEEEENS4_IJNS_8SequenceIJLi0EEEENSI_IJLi2EEEENSI_IJLi1EEEEEEENS4_IJNSI_IJLi1ELi2EEEENSI_IJLi3ELi4EEEENSI_IJLi5EEEEEEENSI_IJLi3ELi5ELi4EEEElEENS3_INS4_IJNS5_IS6_NS4_IJiS8_EEELb0EEESE_SG_EEENS4_IJSJ_SL_SK_EEESQ_SR_lEENS3_INS4_IJSU_SG_SG_EEESW_NS4_IJSN_NSI_IJLi3EEEENSI_IJLi4EEEEEEESO_lEELi128ELi128ELi16ELi2ELi4ELi4ELi1ENSI_IJLi8ELi2EEEES13_NSI_IJLi2ELi1ELi4ELi2EEEENSI_IJLi8ELi1ELi32ELi1EEEENSI_IJLi0ELi3ELi1ELi2EEEES16_NSI_IJLi1ELi1ELi4ELi1EEEES16_NSI_IJLi1ELi1ELi4ELi2EEEES14_S15_S16_S16_S17_S16_S18_NSI_IJLi0ELi1ELi2ELi3ELi4ELi5EEEELi5ELi4EEEDF16_DF16_NS3_INS4_IJSA_SE_SG_SG_NSB_INS4_IJiNS7_IiLi128EEEEEELb0EEENSF_ISC_EEEEENS4_IJSJ_SK_SL_SZ_SP_S10_EEENS4_IJSN_SO_SP_NSI_IJLi6EEEENSI_IJLi7ELi8EEEENSI_IJLi9EEEEEEENSI_IJLi6ELi7ELi8ELi9EEEElEENS3_INS4_IJSU_SE_SG_SG_S1D_S1E_EEENS4_IJSJ_SL_SK_SZ_SP_S10_EEES1K_S1L_lEENS3_INS4_IJSU_SG_SG_NSB_INS4_IJiSC_NS7_IiLi64EEEEEELb0EEES1S_EEENS4_IJSJ_SL_SK_SZ_S10_EEENS4_IJSN_SZ_S10_NSI_IJLi5ELi6ELi7EEEENSI_IJLi8ELi9ELi10EEEEEEENSI_IJLi5ELi6ELi7ELi8ELi9ELi10EEEElEENS_31BlockToCTileMap_M00_N00_M01_N01ILi128ELi128ES12_Lb0EEELb0ELb0EEEvPKT0_S24_PT1_T2_T3_T4_T5_,"axG",@progbits,_ZN2ck19kernel_gemm_dl_v1r3INS_28GridwiseGemmDl_km_kn_mn_v1r3ILi256EDF16_fDF16_LNS_25InMemoryDataOperationEnumE0ENS_16TensorDescriptorINS_5TupleIJNS_5EmbedINS4_IJiiEEENS4_IJNS_17integral_constantIiLi1EEEiEEELb0EEENS_7UnMergeINS4_IJiNS7_IiLi2EEEEEELb0EEENS_11PassThroughIiEEEEENS4_IJNS_8SequenceIJLi0EEEENSI_IJLi2EEEENSI_IJLi1EEEEEEENS4_IJNSI_IJLi1ELi2EEEENSI_IJLi3ELi4EEEENSI_IJLi5EEEEEEENSI_IJLi3ELi5ELi4EEEElEENS3_INS4_IJNS5_IS6_NS4_IJiS8_EEELb0EEESE_SG_EEENS4_IJSJ_SL_SK_EEESQ_SR_lEENS3_INS4_IJSU_SG_SG_EEESW_NS4_IJSN_NSI_IJLi3EEEENSI_IJLi4EEEEEEESO_lEELi128ELi128ELi16ELi2ELi4ELi4ELi1ENSI_IJLi8ELi2EEEES13_NSI_IJLi2ELi1ELi4ELi2EEEENSI_IJLi8ELi1ELi32ELi1EEEENSI_IJLi0ELi3ELi1ELi2EEEES16_NSI_IJLi1ELi1ELi4ELi1EEEES16_NSI_IJLi1ELi1ELi4ELi2EEEES14_S15_S16_S16_S17_S16_S18_NSI_IJLi0ELi1ELi2ELi3ELi4ELi5EEEELi5ELi4EEEDF16_DF16_NS3_INS4_IJSA_SE_SG_SG_NSB_INS4_IJiNS7_IiLi128EEEEEELb0EEENSF_ISC_EEEEENS4_IJSJ_SK_SL_SZ_SP_S10_EEENS4_IJSN_SO_SP_NSI_IJLi6EEEENSI_IJLi7ELi8EEEENSI_IJLi9EEEEEEENSI_IJLi6ELi7ELi8ELi9EEEElEENS3_INS4_IJSU_SE_SG_SG_S1D_S1E_EEENS4_IJSJ_SL_SK_SZ_SP_S10_EEES1K_S1L_lEENS3_INS4_IJSU_SG_SG_NSB_INS4_IJiSC_NS7_IiLi64EEEEEELb0EEES1S_EEENS4_IJSJ_SL_SK_SZ_S10_EEENS4_IJSN_SZ_S10_NSI_IJLi5ELi6ELi7EEEENSI_IJLi8ELi9ELi10EEEEEEENSI_IJLi5ELi6ELi7ELi8ELi9ELi10EEEElEENS_31BlockToCTileMap_M00_N00_M01_N01ILi128ELi128ES12_Lb0EEELb0ELb0EEEvPKT0_S24_PT1_T2_T3_T4_T5_,comdat
	.protected	_ZN2ck19kernel_gemm_dl_v1r3INS_28GridwiseGemmDl_km_kn_mn_v1r3ILi256EDF16_fDF16_LNS_25InMemoryDataOperationEnumE0ENS_16TensorDescriptorINS_5TupleIJNS_5EmbedINS4_IJiiEEENS4_IJNS_17integral_constantIiLi1EEEiEEELb0EEENS_7UnMergeINS4_IJiNS7_IiLi2EEEEEELb0EEENS_11PassThroughIiEEEEENS4_IJNS_8SequenceIJLi0EEEENSI_IJLi2EEEENSI_IJLi1EEEEEEENS4_IJNSI_IJLi1ELi2EEEENSI_IJLi3ELi4EEEENSI_IJLi5EEEEEEENSI_IJLi3ELi5ELi4EEEElEENS3_INS4_IJNS5_IS6_NS4_IJiS8_EEELb0EEESE_SG_EEENS4_IJSJ_SL_SK_EEESQ_SR_lEENS3_INS4_IJSU_SG_SG_EEESW_NS4_IJSN_NSI_IJLi3EEEENSI_IJLi4EEEEEEESO_lEELi128ELi128ELi16ELi2ELi4ELi4ELi1ENSI_IJLi8ELi2EEEES13_NSI_IJLi2ELi1ELi4ELi2EEEENSI_IJLi8ELi1ELi32ELi1EEEENSI_IJLi0ELi3ELi1ELi2EEEES16_NSI_IJLi1ELi1ELi4ELi1EEEES16_NSI_IJLi1ELi1ELi4ELi2EEEES14_S15_S16_S16_S17_S16_S18_NSI_IJLi0ELi1ELi2ELi3ELi4ELi5EEEELi5ELi4EEEDF16_DF16_NS3_INS4_IJSA_SE_SG_SG_NSB_INS4_IJiNS7_IiLi128EEEEEELb0EEENSF_ISC_EEEEENS4_IJSJ_SK_SL_SZ_SP_S10_EEENS4_IJSN_SO_SP_NSI_IJLi6EEEENSI_IJLi7ELi8EEEENSI_IJLi9EEEEEEENSI_IJLi6ELi7ELi8ELi9EEEElEENS3_INS4_IJSU_SE_SG_SG_S1D_S1E_EEENS4_IJSJ_SL_SK_SZ_SP_S10_EEES1K_S1L_lEENS3_INS4_IJSU_SG_SG_NSB_INS4_IJiSC_NS7_IiLi64EEEEEELb0EEES1S_EEENS4_IJSJ_SL_SK_SZ_S10_EEENS4_IJSN_SZ_S10_NSI_IJLi5ELi6ELi7EEEENSI_IJLi8ELi9ELi10EEEEEEENSI_IJLi5ELi6ELi7ELi8ELi9ELi10EEEElEENS_31BlockToCTileMap_M00_N00_M01_N01ILi128ELi128ES12_Lb0EEELb0ELb0EEEvPKT0_S24_PT1_T2_T3_T4_T5_ ; -- Begin function _ZN2ck19kernel_gemm_dl_v1r3INS_28GridwiseGemmDl_km_kn_mn_v1r3ILi256EDF16_fDF16_LNS_25InMemoryDataOperationEnumE0ENS_16TensorDescriptorINS_5TupleIJNS_5EmbedINS4_IJiiEEENS4_IJNS_17integral_constantIiLi1EEEiEEELb0EEENS_7UnMergeINS4_IJiNS7_IiLi2EEEEEELb0EEENS_11PassThroughIiEEEEENS4_IJNS_8SequenceIJLi0EEEENSI_IJLi2EEEENSI_IJLi1EEEEEEENS4_IJNSI_IJLi1ELi2EEEENSI_IJLi3ELi4EEEENSI_IJLi5EEEEEEENSI_IJLi3ELi5ELi4EEEElEENS3_INS4_IJNS5_IS6_NS4_IJiS8_EEELb0EEESE_SG_EEENS4_IJSJ_SL_SK_EEESQ_SR_lEENS3_INS4_IJSU_SG_SG_EEESW_NS4_IJSN_NSI_IJLi3EEEENSI_IJLi4EEEEEEESO_lEELi128ELi128ELi16ELi2ELi4ELi4ELi1ENSI_IJLi8ELi2EEEES13_NSI_IJLi2ELi1ELi4ELi2EEEENSI_IJLi8ELi1ELi32ELi1EEEENSI_IJLi0ELi3ELi1ELi2EEEES16_NSI_IJLi1ELi1ELi4ELi1EEEES16_NSI_IJLi1ELi1ELi4ELi2EEEES14_S15_S16_S16_S17_S16_S18_NSI_IJLi0ELi1ELi2ELi3ELi4ELi5EEEELi5ELi4EEEDF16_DF16_NS3_INS4_IJSA_SE_SG_SG_NSB_INS4_IJiNS7_IiLi128EEEEEELb0EEENSF_ISC_EEEEENS4_IJSJ_SK_SL_SZ_SP_S10_EEENS4_IJSN_SO_SP_NSI_IJLi6EEEENSI_IJLi7ELi8EEEENSI_IJLi9EEEEEEENSI_IJLi6ELi7ELi8ELi9EEEElEENS3_INS4_IJSU_SE_SG_SG_S1D_S1E_EEENS4_IJSJ_SL_SK_SZ_SP_S10_EEES1K_S1L_lEENS3_INS4_IJSU_SG_SG_NSB_INS4_IJiSC_NS7_IiLi64EEEEEELb0EEES1S_EEENS4_IJSJ_SL_SK_SZ_S10_EEENS4_IJSN_SZ_S10_NSI_IJLi5ELi6ELi7EEEENSI_IJLi8ELi9ELi10EEEEEEENSI_IJLi5ELi6ELi7ELi8ELi9ELi10EEEElEENS_31BlockToCTileMap_M00_N00_M01_N01ILi128ELi128ES12_Lb0EEELb0ELb0EEEvPKT0_S24_PT1_T2_T3_T4_T5_
	.globl	_ZN2ck19kernel_gemm_dl_v1r3INS_28GridwiseGemmDl_km_kn_mn_v1r3ILi256EDF16_fDF16_LNS_25InMemoryDataOperationEnumE0ENS_16TensorDescriptorINS_5TupleIJNS_5EmbedINS4_IJiiEEENS4_IJNS_17integral_constantIiLi1EEEiEEELb0EEENS_7UnMergeINS4_IJiNS7_IiLi2EEEEEELb0EEENS_11PassThroughIiEEEEENS4_IJNS_8SequenceIJLi0EEEENSI_IJLi2EEEENSI_IJLi1EEEEEEENS4_IJNSI_IJLi1ELi2EEEENSI_IJLi3ELi4EEEENSI_IJLi5EEEEEEENSI_IJLi3ELi5ELi4EEEElEENS3_INS4_IJNS5_IS6_NS4_IJiS8_EEELb0EEESE_SG_EEENS4_IJSJ_SL_SK_EEESQ_SR_lEENS3_INS4_IJSU_SG_SG_EEESW_NS4_IJSN_NSI_IJLi3EEEENSI_IJLi4EEEEEEESO_lEELi128ELi128ELi16ELi2ELi4ELi4ELi1ENSI_IJLi8ELi2EEEES13_NSI_IJLi2ELi1ELi4ELi2EEEENSI_IJLi8ELi1ELi32ELi1EEEENSI_IJLi0ELi3ELi1ELi2EEEES16_NSI_IJLi1ELi1ELi4ELi1EEEES16_NSI_IJLi1ELi1ELi4ELi2EEEES14_S15_S16_S16_S17_S16_S18_NSI_IJLi0ELi1ELi2ELi3ELi4ELi5EEEELi5ELi4EEEDF16_DF16_NS3_INS4_IJSA_SE_SG_SG_NSB_INS4_IJiNS7_IiLi128EEEEEELb0EEENSF_ISC_EEEEENS4_IJSJ_SK_SL_SZ_SP_S10_EEENS4_IJSN_SO_SP_NSI_IJLi6EEEENSI_IJLi7ELi8EEEENSI_IJLi9EEEEEEENSI_IJLi6ELi7ELi8ELi9EEEElEENS3_INS4_IJSU_SE_SG_SG_S1D_S1E_EEENS4_IJSJ_SL_SK_SZ_SP_S10_EEES1K_S1L_lEENS3_INS4_IJSU_SG_SG_NSB_INS4_IJiSC_NS7_IiLi64EEEEEELb0EEES1S_EEENS4_IJSJ_SL_SK_SZ_S10_EEENS4_IJSN_SZ_S10_NSI_IJLi5ELi6ELi7EEEENSI_IJLi8ELi9ELi10EEEEEEENSI_IJLi5ELi6ELi7ELi8ELi9ELi10EEEElEENS_31BlockToCTileMap_M00_N00_M01_N01ILi128ELi128ES12_Lb0EEELb0ELb0EEEvPKT0_S24_PT1_T2_T3_T4_T5_
	.p2align	8
	.type	_ZN2ck19kernel_gemm_dl_v1r3INS_28GridwiseGemmDl_km_kn_mn_v1r3ILi256EDF16_fDF16_LNS_25InMemoryDataOperationEnumE0ENS_16TensorDescriptorINS_5TupleIJNS_5EmbedINS4_IJiiEEENS4_IJNS_17integral_constantIiLi1EEEiEEELb0EEENS_7UnMergeINS4_IJiNS7_IiLi2EEEEEELb0EEENS_11PassThroughIiEEEEENS4_IJNS_8SequenceIJLi0EEEENSI_IJLi2EEEENSI_IJLi1EEEEEEENS4_IJNSI_IJLi1ELi2EEEENSI_IJLi3ELi4EEEENSI_IJLi5EEEEEEENSI_IJLi3ELi5ELi4EEEElEENS3_INS4_IJNS5_IS6_NS4_IJiS8_EEELb0EEESE_SG_EEENS4_IJSJ_SL_SK_EEESQ_SR_lEENS3_INS4_IJSU_SG_SG_EEESW_NS4_IJSN_NSI_IJLi3EEEENSI_IJLi4EEEEEEESO_lEELi128ELi128ELi16ELi2ELi4ELi4ELi1ENSI_IJLi8ELi2EEEES13_NSI_IJLi2ELi1ELi4ELi2EEEENSI_IJLi8ELi1ELi32ELi1EEEENSI_IJLi0ELi3ELi1ELi2EEEES16_NSI_IJLi1ELi1ELi4ELi1EEEES16_NSI_IJLi1ELi1ELi4ELi2EEEES14_S15_S16_S16_S17_S16_S18_NSI_IJLi0ELi1ELi2ELi3ELi4ELi5EEEELi5ELi4EEEDF16_DF16_NS3_INS4_IJSA_SE_SG_SG_NSB_INS4_IJiNS7_IiLi128EEEEEELb0EEENSF_ISC_EEEEENS4_IJSJ_SK_SL_SZ_SP_S10_EEENS4_IJSN_SO_SP_NSI_IJLi6EEEENSI_IJLi7ELi8EEEENSI_IJLi9EEEEEEENSI_IJLi6ELi7ELi8ELi9EEEElEENS3_INS4_IJSU_SE_SG_SG_S1D_S1E_EEENS4_IJSJ_SL_SK_SZ_SP_S10_EEES1K_S1L_lEENS3_INS4_IJSU_SG_SG_NSB_INS4_IJiSC_NS7_IiLi64EEEEEELb0EEES1S_EEENS4_IJSJ_SL_SK_SZ_S10_EEENS4_IJSN_SZ_S10_NSI_IJLi5ELi6ELi7EEEENSI_IJLi8ELi9ELi10EEEEEEENSI_IJLi5ELi6ELi7ELi8ELi9ELi10EEEElEENS_31BlockToCTileMap_M00_N00_M01_N01ILi128ELi128ES12_Lb0EEELb0ELb0EEEvPKT0_S24_PT1_T2_T3_T4_T5_,@function
_ZN2ck19kernel_gemm_dl_v1r3INS_28GridwiseGemmDl_km_kn_mn_v1r3ILi256EDF16_fDF16_LNS_25InMemoryDataOperationEnumE0ENS_16TensorDescriptorINS_5TupleIJNS_5EmbedINS4_IJiiEEENS4_IJNS_17integral_constantIiLi1EEEiEEELb0EEENS_7UnMergeINS4_IJiNS7_IiLi2EEEEEELb0EEENS_11PassThroughIiEEEEENS4_IJNS_8SequenceIJLi0EEEENSI_IJLi2EEEENSI_IJLi1EEEEEEENS4_IJNSI_IJLi1ELi2EEEENSI_IJLi3ELi4EEEENSI_IJLi5EEEEEEENSI_IJLi3ELi5ELi4EEEElEENS3_INS4_IJNS5_IS6_NS4_IJiS8_EEELb0EEESE_SG_EEENS4_IJSJ_SL_SK_EEESQ_SR_lEENS3_INS4_IJSU_SG_SG_EEESW_NS4_IJSN_NSI_IJLi3EEEENSI_IJLi4EEEEEEESO_lEELi128ELi128ELi16ELi2ELi4ELi4ELi1ENSI_IJLi8ELi2EEEES13_NSI_IJLi2ELi1ELi4ELi2EEEENSI_IJLi8ELi1ELi32ELi1EEEENSI_IJLi0ELi3ELi1ELi2EEEES16_NSI_IJLi1ELi1ELi4ELi1EEEES16_NSI_IJLi1ELi1ELi4ELi2EEEES14_S15_S16_S16_S17_S16_S18_NSI_IJLi0ELi1ELi2ELi3ELi4ELi5EEEELi5ELi4EEEDF16_DF16_NS3_INS4_IJSA_SE_SG_SG_NSB_INS4_IJiNS7_IiLi128EEEEEELb0EEENSF_ISC_EEEEENS4_IJSJ_SK_SL_SZ_SP_S10_EEENS4_IJSN_SO_SP_NSI_IJLi6EEEENSI_IJLi7ELi8EEEENSI_IJLi9EEEEEEENSI_IJLi6ELi7ELi8ELi9EEEElEENS3_INS4_IJSU_SE_SG_SG_S1D_S1E_EEENS4_IJSJ_SL_SK_SZ_SP_S10_EEES1K_S1L_lEENS3_INS4_IJSU_SG_SG_NSB_INS4_IJiSC_NS7_IiLi64EEEEEELb0EEES1S_EEENS4_IJSJ_SL_SK_SZ_S10_EEENS4_IJSN_SZ_S10_NSI_IJLi5ELi6ELi7EEEENSI_IJLi8ELi9ELi10EEEEEEENSI_IJLi5ELi6ELi7ELi8ELi9ELi10EEEElEENS_31BlockToCTileMap_M00_N00_M01_N01ILi128ELi128ES12_Lb0EEELb0ELb0EEEvPKT0_S24_PT1_T2_T3_T4_T5_: ; @_ZN2ck19kernel_gemm_dl_v1r3INS_28GridwiseGemmDl_km_kn_mn_v1r3ILi256EDF16_fDF16_LNS_25InMemoryDataOperationEnumE0ENS_16TensorDescriptorINS_5TupleIJNS_5EmbedINS4_IJiiEEENS4_IJNS_17integral_constantIiLi1EEEiEEELb0EEENS_7UnMergeINS4_IJiNS7_IiLi2EEEEEELb0EEENS_11PassThroughIiEEEEENS4_IJNS_8SequenceIJLi0EEEENSI_IJLi2EEEENSI_IJLi1EEEEEEENS4_IJNSI_IJLi1ELi2EEEENSI_IJLi3ELi4EEEENSI_IJLi5EEEEEEENSI_IJLi3ELi5ELi4EEEElEENS3_INS4_IJNS5_IS6_NS4_IJiS8_EEELb0EEESE_SG_EEENS4_IJSJ_SL_SK_EEESQ_SR_lEENS3_INS4_IJSU_SG_SG_EEESW_NS4_IJSN_NSI_IJLi3EEEENSI_IJLi4EEEEEEESO_lEELi128ELi128ELi16ELi2ELi4ELi4ELi1ENSI_IJLi8ELi2EEEES13_NSI_IJLi2ELi1ELi4ELi2EEEENSI_IJLi8ELi1ELi32ELi1EEEENSI_IJLi0ELi3ELi1ELi2EEEES16_NSI_IJLi1ELi1ELi4ELi1EEEES16_NSI_IJLi1ELi1ELi4ELi2EEEES14_S15_S16_S16_S17_S16_S18_NSI_IJLi0ELi1ELi2ELi3ELi4ELi5EEEELi5ELi4EEEDF16_DF16_NS3_INS4_IJSA_SE_SG_SG_NSB_INS4_IJiNS7_IiLi128EEEEEELb0EEENSF_ISC_EEEEENS4_IJSJ_SK_SL_SZ_SP_S10_EEENS4_IJSN_SO_SP_NSI_IJLi6EEEENSI_IJLi7ELi8EEEENSI_IJLi9EEEEEEENSI_IJLi6ELi7ELi8ELi9EEEElEENS3_INS4_IJSU_SE_SG_SG_S1D_S1E_EEENS4_IJSJ_SL_SK_SZ_SP_S10_EEES1K_S1L_lEENS3_INS4_IJSU_SG_SG_NSB_INS4_IJiSC_NS7_IiLi64EEEEEELb0EEES1S_EEENS4_IJSJ_SL_SK_SZ_S10_EEENS4_IJSN_SZ_S10_NSI_IJLi5ELi6ELi7EEEENSI_IJLi8ELi9ELi10EEEEEEENSI_IJLi5ELi6ELi7ELi8ELi9ELi10EEEElEENS_31BlockToCTileMap_M00_N00_M01_N01ILi128ELi128ES12_Lb0EEELb0ELb0EEEvPKT0_S24_PT1_T2_T3_T4_T5_
; %bb.0:
	s_clause 0x7
	s_load_b128 s[20:23], s[0:1], 0x11c
	s_load_b128 s[16:19], s[0:1], 0x130
	;; [unrolled: 1-line block ×3, first 2 shown]
	s_load_b32 s24, s[0:1], 0x24
	s_load_b32 s2, s[0:1], 0x50
	;; [unrolled: 1-line block ×3, first 2 shown]
	s_load_b128 s[8:11], s[0:1], 0x0
	s_load_b64 s[4:5], s[0:1], 0x10
	v_lshrrev_b32_e32 v1, 4, v0
	v_lshlrev_b32_e32 v3, 2, v0
	s_mov_b32 s3, 0x31004000
	s_delay_alu instid0(VALU_DEP_2) | instskip(NEXT) | instid1(VALU_DEP_2)
	v_and_b32_e32 v2, 14, v1
	v_and_b32_e32 v4, 0x7c, v3
	s_delay_alu instid0(VALU_DEP_2) | instskip(SKIP_2) | instid1(VALU_DEP_1)
	v_lshlrev_b32_e32 v1, 1, v2
	s_wait_kmcnt 0x0
	s_mul_hi_u32 s6, s23, ttmp9
	v_mul_lo_u32 v5, s24, v1
	s_add_co_i32 s6, ttmp9, s6
	v_mul_lo_u32 v1, s25, v1
	s_lshr_b32 s7, s6, s19
	s_clause 0x4
	s_load_b32 s23, s[0:1], 0x90
	s_load_b32 s19, s[0:1], 0xa0
	;; [unrolled: 1-line block ×5, first 2 shown]
	s_mul_hi_u32 s1, s7, s22
	s_mul_i32 s15, s7, s15
	s_add_co_i32 s1, s7, s1
	s_sub_co_i32 s15, ttmp9, s15
	s_lshr_b32 s18, s1, s18
	s_lshl_b32 s2, s2, 1
	s_mul_hi_u32 s1, s18, s21
	s_mul_i32 s14, s18, s14
	s_add_co_i32 s21, s18, s1
	s_and_b32 s1, s9, 0xffff
	s_lshr_b32 s9, s21, s17
	s_sub_co_i32 s7, s7, s14
	s_mul_hi_u32 s17, s9, s20
	s_and_b32 s5, s5, 0xffff
	s_add_co_i32 s17, s9, s17
	s_delay_alu instid0(SALU_CYCLE_1)
	s_lshr_b32 s16, s17, s16
	s_wait_kmcnt 0x0
	s_lshl_b32 s6, s6, 1
	s_mul_i32 s16, s16, s12
	s_mul_i32 s12, s9, s13
	s_sub_co_i32 s9, s9, s16
	s_sub_co_i32 s12, s18, s12
	s_mul_i32 s9, s9, s26
	s_mul_i32 s12, s12, s0
	s_add_co_i32 s7, s7, s9
	s_add_co_i32 s15, s15, s12
	s_lshl_b32 s9, s7, 7
	s_lshl_b32 s7, s15, 7
	v_add3_u32 v5, v5, v4, s9
	v_add3_u32 v1, v1, v4, s7
	s_mov_b32 s0, s8
	s_lshl_b32 s8, s24, 1
	s_lshl_b32 s12, s25, 1
	v_add_nc_u32_e32 v6, s24, v5
	v_add_nc_u32_e32 v16, s25, v1
	v_lshlrev_b32_e32 v8, 1, v5
	v_lshlrev_b32_e32 v7, 1, v1
	s_wait_alu 0xfffe
	v_add_lshl_u32 v5, s8, v5, 1
	v_lshlrev_b32_e32 v10, 1, v6
	v_add_lshl_u32 v6, v6, s8, 1
	v_lshlrev_b32_e32 v18, 1, v16
	v_add_lshl_u32 v1, s12, v1, 1
	s_clause 0x3
	buffer_load_b64 v[8:9], v8, s[0:3], null offen
	buffer_load_b64 v[10:11], v10, s[0:3], null offen
	;; [unrolled: 1-line block ×4, first 2 shown]
	v_add_lshl_u32 v5, v16, s12, 1
	s_lshl_b32 s2, s23, 1
	s_and_b32 s1, s11, 0xffff
	s_mov_b32 s0, s10
	s_clause 0x3
	buffer_load_b64 v[16:17], v7, s[0:3], null offen
	buffer_load_b64 v[18:19], v18, s[0:3], null offen
	buffer_load_b64 v[20:21], v5, s[0:3], null offen
	buffer_load_b64 v[22:23], v1, s[0:3], null offen
	v_lshrrev_b32_e32 v1, 5, v0
	v_lshlrev_b32_e32 v0, 1, v0
	v_lshlrev_b32_e32 v4, 2, v4
	s_delay_alu instid0(VALU_DEP_3) | instskip(NEXT) | instid1(VALU_DEP_3)
	v_lshlrev_b32_e32 v5, 6, v1
	v_and_b32_e32 v6, 0x1f8, v0
	v_lshlrev_b32_e32 v1, 3, v1
	s_delay_alu instid0(VALU_DEP_4) | instskip(NEXT) | instid1(VALU_DEP_3)
	v_lshl_or_b32 v24, v2, 9, v4
	v_sub_nc_u32_e32 v5, v6, v5
	s_delay_alu instid0(VALU_DEP_3) | instskip(NEXT) | instid1(VALU_DEP_2)
	v_and_or_b32 v1, v0, 4, v1
	v_and_or_b32 v0, v3, 4, v5
	s_delay_alu instid0(VALU_DEP_2) | instskip(SKIP_1) | instid1(VALU_DEP_3)
	v_lshlrev_b32_e32 v2, 2, v1
	v_or_b32_e32 v1, s9, v1
	v_lshlrev_b32_e32 v3, 2, v0
	s_delay_alu instid0(VALU_DEP_2)
	v_mul_lo_u32 v1, v1, s19
	s_wait_loadcnt 0x6
	v_perm_b32 v7, v11, v9, 0x7060302
	v_perm_b32 v5, v10, v8, 0x7060302
	v_perm_b32 v4, v10, v8, 0x5040100
	v_perm_b32 v6, v11, v9, 0x5040100
	s_wait_loadcnt 0x4
	v_perm_b32 v11, v13, v15, 0x7060302
	v_perm_b32 v9, v12, v14, 0x7060302
	v_perm_b32 v8, v12, v14, 0x5040100
	v_perm_b32 v10, v13, v15, 0x5040100
	;; [unrolled: 5-line block ×4, first 2 shown]
	ds_store_b128 v24, v[4:7]
	ds_store_b128 v24, v[8:11] offset:512
	ds_store_b128 v24, v[12:15] offset:16384
	;; [unrolled: 1-line block ×3, first 2 shown]
	s_wait_dscnt 0x0
	s_barrier_signal -1
	s_barrier_wait -1
	global_inv scope:SCOPE_SE
	ds_load_b128 v[4:7], v3 offset:16384
	ds_load_b128 v[8:11], v3 offset:16640
	ds_load_b128 v[12:15], v2
	ds_load_b128 v[16:19], v2 offset:256
	ds_load_b128 v[20:23], v3 offset:16896
	ds_load_b128 v[24:27], v3 offset:17152
	ds_load_b128 v[28:31], v2 offset:512
	ds_load_b128 v[32:35], v2 offset:768
	ds_load_b128 v[36:39], v3 offset:17408
	ds_load_b128 v[40:43], v3 offset:17664
	ds_load_b128 v[44:47], v2 offset:1024
	ds_load_b128 v[48:51], v2 offset:1280
	ds_load_b128 v[52:55], v3 offset:17920
	ds_load_b128 v[56:59], v3 offset:18176
	ds_load_b128 v[60:63], v2 offset:1536
	ds_load_b128 v[64:67], v2 offset:1792
	ds_load_b128 v[68:71], v3 offset:18432
	ds_load_b128 v[72:75], v3 offset:18688
	ds_load_b128 v[76:79], v2 offset:2048
	ds_load_b128 v[80:83], v2 offset:2304
	ds_load_b128 v[84:87], v2 offset:2560
	ds_load_b128 v[88:91], v3 offset:18944
	s_wait_dscnt 0x13
	v_dot2_f32_f16 v92, v12, v4, 0
	v_dot2_f32_f16 v93, v12, v5, 0
	v_dot2_f32_f16 v94, v12, v6, 0
	v_dot2_f32_f16 v95, v12, v7, 0
	v_dot2_f32_f16 v96, v13, v4, 0
	v_dot2_f32_f16 v97, v13, v5, 0
	v_dot2_f32_f16 v98, v13, v6, 0
	v_dot2_f32_f16 v99, v13, v7, 0
	v_dot2_f32_f16 v100, v14, v4, 0
	v_dot2_f32_f16 v101, v14, v5, 0
	v_dot2_f32_f16 v102, v14, v6, 0
	v_dot2_f32_f16 v103, v14, v7, 0
	v_dot2_f32_f16 v104, v15, v4, 0
	v_dot2_f32_f16 v105, v15, v5, 0
	v_dot2_f32_f16 v106, v15, v6, 0
	v_dot2_f32_f16 v107, v15, v7, 0
	v_dot2_f32_f16 v108, v12, v8, 0
	v_dot2_f32_f16 v109, v12, v9, 0
	v_dot2_f32_f16 v110, v12, v10, 0
	v_dot2_f32_f16 v12, v12, v11, 0
	v_dot2_f32_f16 v111, v13, v8, 0
	v_dot2_f32_f16 v112, v13, v9, 0
	v_dot2_f32_f16 v113, v13, v10, 0
	v_dot2_f32_f16 v13, v13, v11, 0
	v_dot2_f32_f16 v114, v14, v8, 0
	v_dot2_f32_f16 v115, v14, v9, 0
	v_dot2_f32_f16 v116, v14, v10, 0
	v_dot2_f32_f16 v14, v14, v11, 0
	v_dot2_f32_f16 v117, v15, v8, 0
	v_dot2_f32_f16 v118, v15, v9, 0
	v_dot2_f32_f16 v119, v15, v10, 0
	v_dot2_f32_f16 v15, v15, v11, 0
	s_wait_dscnt 0x12
	v_dot2_f32_f16 v120, v16, v4, 0
	v_dot2_f32_f16 v121, v16, v5, 0
	v_dot2_f32_f16 v122, v16, v6, 0
	v_dot2_f32_f16 v123, v16, v7, 0
	v_dot2_f32_f16 v124, v17, v4, 0
	v_dot2_f32_f16 v125, v17, v5, 0
	v_dot2_f32_f16 v126, v17, v6, 0
	v_dot2_f32_f16 v127, v17, v7, 0
	v_dot2_f32_f16 v128, v18, v4, 0
	v_dot2_f32_f16 v129, v18, v5, 0
	v_dot2_f32_f16 v130, v18, v6, 0
	v_dot2_f32_f16 v131, v18, v7, 0
	v_dot2_f32_f16 v4, v19, v4, 0
	v_dot2_f32_f16 v5, v19, v5, 0
	v_dot2_f32_f16 v6, v19, v6, 0
	v_dot2_f32_f16 v7, v19, v7, 0
	v_dot2_f32_f16 v132, v16, v8, 0
	v_dot2_f32_f16 v133, v16, v9, 0
	v_dot2_f32_f16 v134, v16, v10, 0
	v_dot2_f32_f16 v16, v16, v11, 0
	v_dot2_f32_f16 v135, v17, v8, 0
	v_dot2_f32_f16 v136, v17, v9, 0
	v_dot2_f32_f16 v137, v17, v10, 0
	v_dot2_f32_f16 v17, v17, v11, 0
	v_dot2_f32_f16 v138, v18, v8, 0
	v_dot2_f32_f16 v139, v18, v9, 0
	v_dot2_f32_f16 v140, v18, v10, 0
	v_dot2_f32_f16 v18, v18, v11, 0
	v_dot2_f32_f16 v8, v19, v8, 0
	v_dot2_f32_f16 v9, v19, v9, 0
	v_dot2_f32_f16 v10, v19, v10, 0
	v_dot2_f32_f16 v11, v19, v11, 0
	;; [unrolled: 33-line block ×9, first 2 shown]
	s_wait_dscnt 0x2
	v_dot2_f32_f16 v31, v80, v68, v31
	v_dot2_f32_f16 v47, v80, v69, v47
	;; [unrolled: 1-line block ×30, first 2 shown]
	ds_load_b128 v[4:7], v3 offset:19200
	v_dot2_f32_f16 v74, v83, v74, v10
	v_dot2_f32_f16 v75, v83, v75, v11
	ds_load_b128 v[8:11], v2 offset:2816
	s_wait_dscnt 0x2
	v_dot2_f32_f16 v79, v84, v88, v19
	v_dot2_f32_f16 v24, v84, v89, v24
	v_dot2_f32_f16 v25, v84, v90, v25
	v_dot2_f32_f16 v26, v84, v91, v26
	v_dot2_f32_f16 v27, v85, v88, v27
	v_dot2_f32_f16 v34, v85, v89, v34
	v_dot2_f32_f16 v35, v85, v90, v35
	v_dot2_f32_f16 v39, v85, v91, v39
	v_dot2_f32_f16 v40, v86, v88, v40
	v_dot2_f32_f16 v41, v86, v89, v41
	v_dot2_f32_f16 v42, v86, v90, v42
	v_dot2_f32_f16 v43, v86, v91, v43
	v_dot2_f32_f16 v48, v87, v88, v48
	v_dot2_f32_f16 v49, v87, v89, v49
	v_dot2_f32_f16 v50, v87, v90, v50
	v_dot2_f32_f16 v51, v87, v91, v51
	ds_load_b128 v[16:19], v3 offset:19456
	s_wait_dscnt 0x2
	v_dot2_f32_f16 v52, v84, v4, v52
	v_dot2_f32_f16 v53, v84, v5, v53
	v_dot2_f32_f16 v54, v84, v6, v54
	v_dot2_f32_f16 v80, v84, v7, v12
	v_dot2_f32_f16 v28, v85, v4, v28
	v_dot2_f32_f16 v44, v85, v5, v44
	v_dot2_f32_f16 v55, v85, v6, v55
	v_dot2_f32_f16 v81, v85, v7, v13
	v_dot2_f32_f16 v29, v86, v4, v29
	v_dot2_f32_f16 v45, v86, v5, v45
	v_dot2_f32_f16 v56, v86, v6, v56
	v_dot2_f32_f16 v82, v86, v7, v14
	v_dot2_f32_f16 v30, v87, v4, v30
	v_dot2_f32_f16 v46, v87, v5, v46
	;; [unrolled: 18-line block ×3, first 2 shown]
	ds_load_b128 v[20:23], v3 offset:19712
	v_dot2_f32_f16 v74, v11, v6, v74
	v_dot2_f32_f16 v75, v11, v7, v75
	ds_load_b128 v[4:7], v2 offset:3328
	v_dot2_f32_f16 v31, v8, v88, v31
	v_dot2_f32_f16 v47, v8, v89, v47
	;; [unrolled: 1-line block ×16, first 2 shown]
	s_wait_dscnt 0x2
	v_dot2_f32_f16 v79, v12, v16, v79
	v_dot2_f32_f16 v24, v12, v17, v24
	;; [unrolled: 1-line block ×16, first 2 shown]
	ds_load_b128 v[8:11], v2 offset:3584
	s_wait_dscnt 0x1
	v_dot2_f32_f16 v31, v4, v16, v31
	v_dot2_f32_f16 v47, v4, v17, v47
	v_dot2_f32_f16 v58, v4, v18, v58
	v_dot2_f32_f16 v59, v4, v19, v59
	v_dot2_f32_f16 v60, v5, v16, v60
	v_dot2_f32_f16 v61, v5, v17, v61
	v_dot2_f32_f16 v62, v5, v18, v62
	v_dot2_f32_f16 v63, v5, v19, v63
	v_dot2_f32_f16 v64, v6, v16, v64
	v_dot2_f32_f16 v65, v6, v17, v65
	v_dot2_f32_f16 v66, v6, v18, v66
	v_dot2_f32_f16 v67, v6, v19, v67
	v_dot2_f32_f16 v68, v7, v16, v68
	v_dot2_f32_f16 v69, v7, v17, v69
	v_dot2_f32_f16 v70, v7, v18, v70
	v_dot2_f32_f16 v71, v7, v19, v71
	ds_load_b128 v[16:19], v3 offset:20224
	v_dot2_f32_f16 v52, v12, v20, v52
	v_dot2_f32_f16 v53, v12, v21, v53
	v_dot2_f32_f16 v54, v12, v22, v54
	v_dot2_f32_f16 v80, v12, v23, v80
	v_dot2_f32_f16 v28, v13, v20, v28
	v_dot2_f32_f16 v44, v13, v21, v44
	v_dot2_f32_f16 v55, v13, v22, v55
	v_dot2_f32_f16 v81, v13, v23, v81
	v_dot2_f32_f16 v29, v14, v20, v29
	v_dot2_f32_f16 v45, v14, v21, v45
	v_dot2_f32_f16 v56, v14, v22, v56
	v_dot2_f32_f16 v82, v14, v23, v82
	v_dot2_f32_f16 v30, v15, v20, v30
	v_dot2_f32_f16 v46, v15, v21, v46
	v_dot2_f32_f16 v57, v15, v22, v57
	v_dot2_f32_f16 v83, v15, v23, v83
	ds_load_b128 v[12:15], v3 offset:19968
	;; [unrolled: 17-line block ×3, first 2 shown]
	s_wait_dscnt 0x2
	v_dot2_f32_f16 v52, v8, v16, v52
	v_dot2_f32_f16 v53, v8, v17, v53
	;; [unrolled: 1-line block ×16, first 2 shown]
	ds_load_b128 v[20:23], v3 offset:20480
	s_wait_dscnt 0x2
	v_dot2_f32_f16 v79, v8, v12, v79
	v_dot2_f32_f16 v24, v8, v13, v24
	;; [unrolled: 1-line block ×16, first 2 shown]
	ds_load_b128 v[8:11], v2 offset:4096
	s_wait_dscnt 0x2
	v_dot2_f32_f16 v31, v4, v12, v31
	v_dot2_f32_f16 v47, v4, v13, v47
	;; [unrolled: 1-line block ×30, first 2 shown]
	ds_load_b128 v[12:15], v3 offset:20736
	v_dot2_f32_f16 v74, v7, v18, v74
	v_dot2_f32_f16 v75, v7, v19, v75
	ds_load_b128 v[4:7], v2 offset:4352
	s_wait_dscnt 0x2
	v_dot2_f32_f16 v79, v8, v20, v79
	v_dot2_f32_f16 v24, v8, v21, v24
	v_dot2_f32_f16 v25, v8, v22, v25
	v_dot2_f32_f16 v26, v8, v23, v26
	v_dot2_f32_f16 v27, v9, v20, v27
	v_dot2_f32_f16 v34, v9, v21, v34
	v_dot2_f32_f16 v35, v9, v22, v35
	v_dot2_f32_f16 v39, v9, v23, v39
	v_dot2_f32_f16 v40, v10, v20, v40
	v_dot2_f32_f16 v41, v10, v21, v41
	v_dot2_f32_f16 v42, v10, v22, v42
	v_dot2_f32_f16 v43, v10, v23, v43
	v_dot2_f32_f16 v48, v11, v20, v48
	v_dot2_f32_f16 v49, v11, v21, v49
	v_dot2_f32_f16 v50, v11, v22, v50
	v_dot2_f32_f16 v51, v11, v23, v51
	ds_load_b128 v[16:19], v3 offset:20992
	s_wait_dscnt 0x2
	v_dot2_f32_f16 v52, v8, v12, v52
	v_dot2_f32_f16 v53, v8, v13, v53
	v_dot2_f32_f16 v54, v8, v14, v54
	v_dot2_f32_f16 v80, v8, v15, v80
	v_dot2_f32_f16 v28, v9, v12, v28
	v_dot2_f32_f16 v44, v9, v13, v44
	v_dot2_f32_f16 v55, v9, v14, v55
	v_dot2_f32_f16 v81, v9, v15, v81
	v_dot2_f32_f16 v29, v10, v12, v29
	v_dot2_f32_f16 v45, v10, v13, v45
	v_dot2_f32_f16 v56, v10, v14, v56
	v_dot2_f32_f16 v82, v10, v15, v82
	v_dot2_f32_f16 v30, v11, v12, v30
	v_dot2_f32_f16 v46, v11, v13, v46
	;; [unrolled: 18-line block ×3, first 2 shown]
	v_dot2_f32_f16 v70, v7, v22, v70
	v_dot2_f32_f16 v71, v7, v23, v71
	;; [unrolled: 1-line block ×16, first 2 shown]
	ds_load_b128 v[20:23], v3 offset:21248
	v_dot2_f32_f16 v74, v7, v14, v74
	v_dot2_f32_f16 v75, v7, v15, v75
	ds_load_b128 v[4:7], v2 offset:4864
	s_wait_dscnt 0x2
	v_dot2_f32_f16 v79, v8, v16, v79
	v_dot2_f32_f16 v24, v8, v17, v24
	v_dot2_f32_f16 v25, v8, v18, v25
	v_dot2_f32_f16 v26, v8, v19, v26
	v_dot2_f32_f16 v27, v9, v16, v27
	v_dot2_f32_f16 v34, v9, v17, v34
	v_dot2_f32_f16 v35, v9, v18, v35
	v_dot2_f32_f16 v39, v9, v19, v39
	v_dot2_f32_f16 v40, v10, v16, v40
	v_dot2_f32_f16 v41, v10, v17, v41
	v_dot2_f32_f16 v42, v10, v18, v42
	v_dot2_f32_f16 v43, v10, v19, v43
	v_dot2_f32_f16 v48, v11, v16, v48
	v_dot2_f32_f16 v49, v11, v17, v49
	v_dot2_f32_f16 v50, v11, v18, v50
	v_dot2_f32_f16 v51, v11, v19, v51
	ds_load_b128 v[12:15], v3 offset:21504
	s_wait_dscnt 0x2
	v_dot2_f32_f16 v52, v8, v20, v52
	v_dot2_f32_f16 v53, v8, v21, v53
	v_dot2_f32_f16 v54, v8, v22, v54
	v_dot2_f32_f16 v80, v8, v23, v80
	v_dot2_f32_f16 v28, v9, v20, v28
	v_dot2_f32_f16 v44, v9, v21, v44
	v_dot2_f32_f16 v55, v9, v22, v55
	v_dot2_f32_f16 v81, v9, v23, v81
	v_dot2_f32_f16 v29, v10, v20, v29
	v_dot2_f32_f16 v45, v10, v21, v45
	v_dot2_f32_f16 v56, v10, v22, v56
	v_dot2_f32_f16 v82, v10, v23, v82
	v_dot2_f32_f16 v30, v11, v20, v30
	v_dot2_f32_f16 v46, v11, v21, v46
	;; [unrolled: 18-line block ×3, first 2 shown]
	v_dot2_f32_f16 v70, v7, v18, v70
	v_dot2_f32_f16 v71, v7, v19, v71
	;; [unrolled: 1-line block ×16, first 2 shown]
	ds_load_b128 v[16:19], v3 offset:21760
	v_dot2_f32_f16 v74, v7, v22, v74
	v_dot2_f32_f16 v75, v7, v23, v75
	ds_load_b128 v[4:7], v2 offset:5376
	s_wait_dscnt 0x2
	v_dot2_f32_f16 v79, v8, v12, v79
	v_dot2_f32_f16 v24, v8, v13, v24
	v_dot2_f32_f16 v25, v8, v14, v25
	v_dot2_f32_f16 v26, v8, v15, v26
	v_dot2_f32_f16 v27, v9, v12, v27
	v_dot2_f32_f16 v34, v9, v13, v34
	v_dot2_f32_f16 v35, v9, v14, v35
	v_dot2_f32_f16 v39, v9, v15, v39
	v_dot2_f32_f16 v40, v10, v12, v40
	v_dot2_f32_f16 v41, v10, v13, v41
	v_dot2_f32_f16 v42, v10, v14, v42
	v_dot2_f32_f16 v43, v10, v15, v43
	v_dot2_f32_f16 v48, v11, v12, v48
	v_dot2_f32_f16 v49, v11, v13, v49
	v_dot2_f32_f16 v50, v11, v14, v50
	v_dot2_f32_f16 v51, v11, v15, v51
	ds_load_b128 v[20:23], v3 offset:22016
	s_wait_dscnt 0x2
	v_dot2_f32_f16 v52, v8, v16, v52
	v_dot2_f32_f16 v53, v8, v17, v53
	v_dot2_f32_f16 v54, v8, v18, v54
	v_dot2_f32_f16 v80, v8, v19, v80
	v_dot2_f32_f16 v28, v9, v16, v28
	v_dot2_f32_f16 v44, v9, v17, v44
	v_dot2_f32_f16 v55, v9, v18, v55
	v_dot2_f32_f16 v81, v9, v19, v81
	v_dot2_f32_f16 v29, v10, v16, v29
	v_dot2_f32_f16 v45, v10, v17, v45
	v_dot2_f32_f16 v56, v10, v18, v56
	v_dot2_f32_f16 v82, v10, v19, v82
	v_dot2_f32_f16 v30, v11, v16, v30
	v_dot2_f32_f16 v46, v11, v17, v46
	;; [unrolled: 18-line block ×3, first 2 shown]
	v_dot2_f32_f16 v70, v7, v14, v70
	v_dot2_f32_f16 v71, v7, v15, v71
	;; [unrolled: 1-line block ×16, first 2 shown]
	ds_load_b128 v[12:15], v3 offset:22272
	v_dot2_f32_f16 v74, v7, v18, v74
	v_dot2_f32_f16 v75, v7, v19, v75
	ds_load_b128 v[4:7], v2 offset:5888
	s_wait_dscnt 0x2
	v_dot2_f32_f16 v79, v8, v20, v79
	v_dot2_f32_f16 v24, v8, v21, v24
	v_dot2_f32_f16 v25, v8, v22, v25
	v_dot2_f32_f16 v26, v8, v23, v26
	v_dot2_f32_f16 v27, v9, v20, v27
	v_dot2_f32_f16 v34, v9, v21, v34
	v_dot2_f32_f16 v35, v9, v22, v35
	v_dot2_f32_f16 v39, v9, v23, v39
	v_dot2_f32_f16 v40, v10, v20, v40
	v_dot2_f32_f16 v41, v10, v21, v41
	v_dot2_f32_f16 v42, v10, v22, v42
	v_dot2_f32_f16 v43, v10, v23, v43
	v_dot2_f32_f16 v48, v11, v20, v48
	v_dot2_f32_f16 v49, v11, v21, v49
	v_dot2_f32_f16 v50, v11, v22, v50
	v_dot2_f32_f16 v51, v11, v23, v51
	ds_load_b128 v[16:19], v3 offset:22528
	s_wait_dscnt 0x2
	v_dot2_f32_f16 v52, v8, v12, v52
	v_dot2_f32_f16 v53, v8, v13, v53
	v_dot2_f32_f16 v54, v8, v14, v54
	v_dot2_f32_f16 v80, v8, v15, v80
	v_dot2_f32_f16 v28, v9, v12, v28
	v_dot2_f32_f16 v44, v9, v13, v44
	v_dot2_f32_f16 v55, v9, v14, v55
	v_dot2_f32_f16 v81, v9, v15, v81
	v_dot2_f32_f16 v29, v10, v12, v29
	v_dot2_f32_f16 v45, v10, v13, v45
	v_dot2_f32_f16 v56, v10, v14, v56
	v_dot2_f32_f16 v82, v10, v15, v82
	v_dot2_f32_f16 v30, v11, v12, v30
	v_dot2_f32_f16 v46, v11, v13, v46
	;; [unrolled: 18-line block ×3, first 2 shown]
	v_dot2_f32_f16 v70, v7, v22, v70
	v_dot2_f32_f16 v71, v7, v23, v71
	;; [unrolled: 1-line block ×16, first 2 shown]
	ds_load_b128 v[20:23], v3 offset:22784
	v_dot2_f32_f16 v74, v7, v14, v74
	v_dot2_f32_f16 v75, v7, v15, v75
	ds_load_b128 v[4:7], v2 offset:6400
	s_wait_dscnt 0x2
	v_dot2_f32_f16 v79, v8, v16, v79
	v_dot2_f32_f16 v24, v8, v17, v24
	v_dot2_f32_f16 v25, v8, v18, v25
	v_dot2_f32_f16 v26, v8, v19, v26
	v_dot2_f32_f16 v27, v9, v16, v27
	v_dot2_f32_f16 v34, v9, v17, v34
	v_dot2_f32_f16 v35, v9, v18, v35
	v_dot2_f32_f16 v39, v9, v19, v39
	v_dot2_f32_f16 v40, v10, v16, v40
	v_dot2_f32_f16 v41, v10, v17, v41
	v_dot2_f32_f16 v42, v10, v18, v42
	v_dot2_f32_f16 v43, v10, v19, v43
	v_dot2_f32_f16 v48, v11, v16, v48
	v_dot2_f32_f16 v49, v11, v17, v49
	v_dot2_f32_f16 v50, v11, v18, v50
	v_dot2_f32_f16 v51, v11, v19, v51
	ds_load_b128 v[12:15], v3 offset:23040
	s_wait_dscnt 0x2
	v_dot2_f32_f16 v52, v8, v20, v52
	v_dot2_f32_f16 v53, v8, v21, v53
	v_dot2_f32_f16 v54, v8, v22, v54
	v_dot2_f32_f16 v80, v8, v23, v80
	v_dot2_f32_f16 v28, v9, v20, v28
	v_dot2_f32_f16 v44, v9, v21, v44
	v_dot2_f32_f16 v55, v9, v22, v55
	v_dot2_f32_f16 v81, v9, v23, v81
	v_dot2_f32_f16 v29, v10, v20, v29
	v_dot2_f32_f16 v45, v10, v21, v45
	v_dot2_f32_f16 v56, v10, v22, v56
	v_dot2_f32_f16 v82, v10, v23, v82
	v_dot2_f32_f16 v30, v11, v20, v30
	v_dot2_f32_f16 v46, v11, v21, v46
	;; [unrolled: 18-line block ×3, first 2 shown]
	v_dot2_f32_f16 v70, v7, v18, v70
	v_dot2_f32_f16 v71, v7, v19, v71
	;; [unrolled: 1-line block ×16, first 2 shown]
	ds_load_b128 v[16:19], v3 offset:23296
	v_dot2_f32_f16 v74, v7, v22, v74
	v_dot2_f32_f16 v75, v7, v23, v75
	ds_load_b128 v[4:7], v2 offset:6912
	s_wait_dscnt 0x2
	v_dot2_f32_f16 v79, v8, v12, v79
	v_dot2_f32_f16 v24, v8, v13, v24
	v_dot2_f32_f16 v25, v8, v14, v25
	v_dot2_f32_f16 v26, v8, v15, v26
	v_dot2_f32_f16 v27, v9, v12, v27
	v_dot2_f32_f16 v34, v9, v13, v34
	v_dot2_f32_f16 v35, v9, v14, v35
	v_dot2_f32_f16 v39, v9, v15, v39
	v_dot2_f32_f16 v40, v10, v12, v40
	v_dot2_f32_f16 v41, v10, v13, v41
	v_dot2_f32_f16 v42, v10, v14, v42
	v_dot2_f32_f16 v43, v10, v15, v43
	v_dot2_f32_f16 v48, v11, v12, v48
	v_dot2_f32_f16 v49, v11, v13, v49
	v_dot2_f32_f16 v50, v11, v14, v50
	v_dot2_f32_f16 v51, v11, v15, v51
	ds_load_b128 v[20:23], v3 offset:23552
	s_wait_dscnt 0x2
	v_dot2_f32_f16 v52, v8, v16, v52
	v_dot2_f32_f16 v53, v8, v17, v53
	v_dot2_f32_f16 v54, v8, v18, v54
	v_dot2_f32_f16 v80, v8, v19, v80
	v_dot2_f32_f16 v28, v9, v16, v28
	v_dot2_f32_f16 v44, v9, v17, v44
	v_dot2_f32_f16 v55, v9, v18, v55
	v_dot2_f32_f16 v81, v9, v19, v81
	v_dot2_f32_f16 v29, v10, v16, v29
	v_dot2_f32_f16 v45, v10, v17, v45
	v_dot2_f32_f16 v56, v10, v18, v56
	v_dot2_f32_f16 v82, v10, v19, v82
	v_dot2_f32_f16 v30, v11, v16, v30
	v_dot2_f32_f16 v46, v11, v17, v46
	;; [unrolled: 18-line block ×3, first 2 shown]
	v_dot2_f32_f16 v70, v7, v14, v70
	v_dot2_f32_f16 v71, v7, v15, v71
	ds_load_b128 v[12:15], v3 offset:23808
	v_dot2_f32_f16 v84, v4, v16, v84
	v_dot2_f32_f16 v85, v4, v17, v85
	;; [unrolled: 1-line block ×16, first 2 shown]
	ds_load_b128 v[4:7], v2 offset:7424
	s_wait_dscnt 0x2
	v_dot2_f32_f16 v79, v8, v20, v79
	v_dot2_f32_f16 v24, v8, v21, v24
	;; [unrolled: 1-line block ×16, first 2 shown]
	s_wait_dscnt 0x1
	v_dot2_f32_f16 v52, v8, v12, v52
	v_dot2_f32_f16 v53, v8, v13, v53
	;; [unrolled: 1-line block ×16, first 2 shown]
	ds_load_b128 v[8:11], v2 offset:7680
	ds_load_b128 v[16:19], v3 offset:24064
	s_wait_dscnt 0x2
	v_dot2_f32_f16 v31, v4, v20, v31
	v_dot2_f32_f16 v47, v4, v21, v47
	;; [unrolled: 1-line block ×32, first 2 shown]
	ds_load_b128 v[12:15], v2 offset:7936
	ds_load_b128 v[3:6], v3 offset:24320
	s_wait_dscnt 0x2
	v_dot2_f32_f16 v2, v8, v16, v79
	v_dot2_f32_f16 v24, v8, v17, v24
	;; [unrolled: 1-line block ×10, first 2 shown]
	v_cvt_f16_f32_e32 v2, v2
	v_cvt_f16_f32_e32 v24, v24
	v_dot2_f32_f16 v34, v9, v17, v34
	v_dot2_f32_f16 v35, v9, v18, v35
	;; [unrolled: 1-line block ×6, first 2 shown]
	s_wait_dscnt 0x1
	v_dot2_f32_f16 v31, v12, v16, v31
	s_wait_dscnt 0x0
	v_dot2_f32_f16 v52, v8, v3, v52
	v_dot2_f32_f16 v28, v9, v3, v28
	;; [unrolled: 1-line block ×15, first 2 shown]
	v_cvt_f16_f32_e32 v3, v25
	v_cvt_f16_f32_e32 v25, v26
	v_add3_u32 v26, s7, v0, v1
	v_dot2_f32_f16 v53, v8, v4, v53
	v_dot2_f32_f16 v54, v8, v5, v54
	;; [unrolled: 1-line block ×3, first 2 shown]
	v_pack_b32_f16 v1, v3, v25
	v_pack_b32_f16 v0, v2, v24
	v_lshlrev_b32_e32 v2, 1, v26
	v_dot2_f32_f16 v44, v9, v4, v44
	v_dot2_f32_f16 v55, v9, v5, v55
	;; [unrolled: 1-line block ×3, first 2 shown]
	s_mov_b32 s7, s3
	v_dot2_f32_f16 v45, v10, v4, v45
	v_dot2_f32_f16 v46, v11, v4, v46
	;; [unrolled: 1-line block ×10, first 2 shown]
	buffer_store_b64 v[0:1], v2, s[4:7], null offen
	v_add_nc_u32_e32 v4, 64, v26
	v_cvt_f16_f32_e32 v0, v52
	v_cvt_f16_f32_e32 v2, v53
	;; [unrolled: 1-line block ×4, first 2 shown]
	v_dot2_f32_f16 v56, v10, v5, v56
	v_dot2_f32_f16 v10, v10, v6, v82
	;; [unrolled: 1-line block ×16, first 2 shown]
	v_cvt_f16_f32_e32 v5, v28
	v_cvt_f16_f32_e32 v7, v55
	;; [unrolled: 1-line block ×4, first 2 shown]
	v_pack_b32_f16 v1, v1, v3
	v_pack_b32_f16 v0, v0, v2
	v_lshlrev_b32_e32 v15, 1, v4
	v_pack_b32_f16 v3, v7, v8
	v_pack_b32_f16 v2, v5, v9
	v_add_lshl_u32 v4, v4, s19, 1
	v_cvt_f16_f32_e32 v7, v35
	v_cvt_f16_f32_e32 v8, v39
	s_clause 0x1
	buffer_store_b64 v[0:1], v15, s[4:7], null offen
	buffer_store_b64 v[2:3], v4, s[4:7], null offen
	v_add_nc_u32_e32 v2, s19, v26
	v_cvt_f16_f32_e32 v5, v27
	v_cvt_f16_f32_e32 v9, v34
	v_pack_b32_f16 v1, v7, v8
	v_cvt_f16_f32_e32 v3, v42
	v_cvt_f16_f32_e32 v4, v43
	v_add_nc_u32_e32 v8, s19, v2
	v_pack_b32_f16 v0, v5, v9
	v_lshlrev_b32_e32 v7, 1, v2
	v_cvt_f16_f32_e32 v2, v40
	v_cvt_f16_f32_e32 v5, v41
	v_pack_b32_f16 v3, v3, v4
	v_cvt_f16_f32_e32 v4, v29
	v_cvt_f16_f32_e32 v9, v56
	;; [unrolled: 1-line block ×4, first 2 shown]
	v_add_nc_u32_e32 v24, 64, v8
	v_pack_b32_f16 v2, v2, v5
	v_lshlrev_b32_e32 v25, 1, v8
	v_pack_b32_f16 v5, v9, v10
	v_pack_b32_f16 v4, v4, v15
	v_lshlrev_b32_e32 v9, 1, v24
	v_cvt_f16_f32_e32 v10, v30
	v_cvt_f16_f32_e32 v15, v57
	;; [unrolled: 1-line block ×4, first 2 shown]
	s_clause 0x2
	buffer_store_b64 v[0:1], v7, s[4:7], null offen
	buffer_store_b64 v[2:3], v25, s[4:7], null offen
	;; [unrolled: 1-line block ×3, first 2 shown]
	v_add_nc_u32_e32 v4, s19, v8
	v_cvt_f16_f32_e32 v2, v50
	v_cvt_f16_f32_e32 v3, v51
	;; [unrolled: 1-line block ×4, first 2 shown]
	v_pack_b32_f16 v1, v15, v11
	v_pack_b32_f16 v0, v10, v26
	v_cvt_f16_f32_e32 v9, v16
	v_cvt_f16_f32_e32 v10, v18
	v_cvt_f16_f32_e32 v11, v19
	v_cvt_f16_f32_e32 v15, v17
	v_lshl_add_u32 v16, s19, 6, v4
	v_add_lshl_u32 v7, v24, s19, 1
	v_pack_b32_f16 v3, v2, v3
	v_pack_b32_f16 v2, v5, v8
	v_lshlrev_b32_e32 v8, 1, v4
	v_pack_b32_f16 v5, v10, v11
	v_pack_b32_f16 v4, v9, v15
	v_lshlrev_b32_e32 v9, 1, v16
	s_clause 0x1
	buffer_store_b64 v[0:1], v7, s[4:7], null offen
	buffer_store_b64 v[2:3], v8, s[4:7], null offen
	v_add_nc_u32_e32 v2, 64, v16
	v_cvt_f16_f32_e32 v0, v70
	v_cvt_f16_f32_e32 v1, v6
	buffer_store_b64 v[4:5], v9, s[4:7], null offen
	v_cvt_f16_f32_e32 v3, v68
	v_cvt_f16_f32_e32 v4, v69
	v_cvt_f16_f32_e32 v5, v33
	v_cvt_f16_f32_e32 v6, v38
	v_cvt_f16_f32_e32 v7, v14
	v_cvt_f16_f32_e32 v8, v37
	v_subrev_nc_u32_e32 v9, s19, v2
	v_pack_b32_f16 v1, v0, v1
	v_pack_b32_f16 v0, v3, v4
	v_lshlrev_b32_e32 v4, 1, v2
	v_pack_b32_f16 v3, v6, v7
	v_pack_b32_f16 v2, v5, v8
	v_lshlrev_b32_e32 v5, 1, v9
	s_clause 0x1
	buffer_store_b64 v[0:1], v4, s[4:7], null offen
	buffer_store_b64 v[2:3], v5, s[4:7], null offen
	v_subrev_nc_u32_e32 v2, 64, v9
	v_cvt_f16_f32_e32 v6, v64
	v_cvt_f16_f32_e32 v10, v65
	;; [unrolled: 1-line block ×4, first 2 shown]
	v_subrev_nc_u32_e32 v5, s19, v2
	v_cvt_f16_f32_e32 v3, v62
	v_cvt_f16_f32_e32 v4, v63
	v_pack_b32_f16 v0, v6, v10
	v_lshlrev_b32_e32 v10, 1, v2
	v_cvt_f16_f32_e32 v2, v60
	v_cvt_f16_f32_e32 v6, v61
	v_add_nc_u32_e32 v11, 64, v5
	v_pack_b32_f16 v1, v7, v8
	v_pack_b32_f16 v3, v3, v4
	v_cvt_f16_f32_e32 v4, v23
	v_cvt_f16_f32_e32 v7, v36
	;; [unrolled: 1-line block ×4, first 2 shown]
	v_pack_b32_f16 v2, v2, v6
	v_subrev_nc_u32_e32 v6, s19, v11
	v_lshlrev_b32_e32 v13, 1, v5
	v_pack_b32_f16 v5, v7, v8
	v_pack_b32_f16 v4, v4, v9
	v_lshlrev_b32_e32 v14, 1, v11
	v_cvt_f16_f32_e32 v8, v20
	v_cvt_f16_f32_e32 v9, v21
	v_cvt_f16_f32_e32 v7, v22
	v_cvt_f16_f32_e32 v11, v12
	v_cvt_f16_f32_e32 v12, v31
	v_cvt_f16_f32_e32 v15, v58
	v_cvt_f16_f32_e32 v16, v59
	v_cvt_f16_f32_e32 v17, v47
	v_lshlrev_b32_e32 v18, 1, v6
	v_pack_b32_f16 v7, v7, v11
	v_pack_b32_f16 v6, v8, v9
	;; [unrolled: 1-line block ×4, first 2 shown]
	v_add_nc_u32_e32 v11, 0xffffff80, v18
	s_clause 0x4
	buffer_store_b64 v[0:1], v10, s[4:7], null offen
	buffer_store_b64 v[2:3], v13, s[4:7], null offen
	buffer_store_b64 v[4:5], v14, s[4:7], null offen
	buffer_store_b64 v[6:7], v18, s[4:7], null offen
	buffer_store_b64 v[8:9], v11, s[4:7], null offen
	s_nop 0
	s_sendmsg sendmsg(MSG_DEALLOC_VGPRS)
	s_endpgm
	.section	.rodata,"a",@progbits
	.p2align	6, 0x0
	.amdhsa_kernel _ZN2ck19kernel_gemm_dl_v1r3INS_28GridwiseGemmDl_km_kn_mn_v1r3ILi256EDF16_fDF16_LNS_25InMemoryDataOperationEnumE0ENS_16TensorDescriptorINS_5TupleIJNS_5EmbedINS4_IJiiEEENS4_IJNS_17integral_constantIiLi1EEEiEEELb0EEENS_7UnMergeINS4_IJiNS7_IiLi2EEEEEELb0EEENS_11PassThroughIiEEEEENS4_IJNS_8SequenceIJLi0EEEENSI_IJLi2EEEENSI_IJLi1EEEEEEENS4_IJNSI_IJLi1ELi2EEEENSI_IJLi3ELi4EEEENSI_IJLi5EEEEEEENSI_IJLi3ELi5ELi4EEEElEENS3_INS4_IJNS5_IS6_NS4_IJiS8_EEELb0EEESE_SG_EEENS4_IJSJ_SL_SK_EEESQ_SR_lEENS3_INS4_IJSU_SG_SG_EEESW_NS4_IJSN_NSI_IJLi3EEEENSI_IJLi4EEEEEEESO_lEELi128ELi128ELi16ELi2ELi4ELi4ELi1ENSI_IJLi8ELi2EEEES13_NSI_IJLi2ELi1ELi4ELi2EEEENSI_IJLi8ELi1ELi32ELi1EEEENSI_IJLi0ELi3ELi1ELi2EEEES16_NSI_IJLi1ELi1ELi4ELi1EEEES16_NSI_IJLi1ELi1ELi4ELi2EEEES14_S15_S16_S16_S17_S16_S18_NSI_IJLi0ELi1ELi2ELi3ELi4ELi5EEEELi5ELi4EEEDF16_DF16_NS3_INS4_IJSA_SE_SG_SG_NSB_INS4_IJiNS7_IiLi128EEEEEELb0EEENSF_ISC_EEEEENS4_IJSJ_SK_SL_SZ_SP_S10_EEENS4_IJSN_SO_SP_NSI_IJLi6EEEENSI_IJLi7ELi8EEEENSI_IJLi9EEEEEEENSI_IJLi6ELi7ELi8ELi9EEEElEENS3_INS4_IJSU_SE_SG_SG_S1D_S1E_EEENS4_IJSJ_SL_SK_SZ_SP_S10_EEES1K_S1L_lEENS3_INS4_IJSU_SG_SG_NSB_INS4_IJiSC_NS7_IiLi64EEEEEELb0EEES1S_EEENS4_IJSJ_SL_SK_SZ_S10_EEENS4_IJSN_SZ_S10_NSI_IJLi5ELi6ELi7EEEENSI_IJLi8ELi9ELi10EEEEEEENSI_IJLi5ELi6ELi7ELi8ELi9ELi10EEEElEENS_31BlockToCTileMap_M00_N00_M01_N01ILi128ELi128ES12_Lb0EEELb0ELb0EEEvPKT0_S24_PT1_T2_T3_T4_T5_
		.amdhsa_group_segment_fixed_size 32768
		.amdhsa_private_segment_fixed_size 0
		.amdhsa_kernarg_size 328
		.amdhsa_user_sgpr_count 2
		.amdhsa_user_sgpr_dispatch_ptr 0
		.amdhsa_user_sgpr_queue_ptr 0
		.amdhsa_user_sgpr_kernarg_segment_ptr 1
		.amdhsa_user_sgpr_dispatch_id 0
		.amdhsa_user_sgpr_private_segment_size 0
		.amdhsa_wavefront_size32 1
		.amdhsa_uses_dynamic_stack 0
		.amdhsa_enable_private_segment 0
		.amdhsa_system_sgpr_workgroup_id_x 1
		.amdhsa_system_sgpr_workgroup_id_y 0
		.amdhsa_system_sgpr_workgroup_id_z 0
		.amdhsa_system_sgpr_workgroup_info 0
		.amdhsa_system_vgpr_workitem_id 0
		.amdhsa_next_free_vgpr 169
		.amdhsa_next_free_sgpr 27
		.amdhsa_reserve_vcc 0
		.amdhsa_float_round_mode_32 0
		.amdhsa_float_round_mode_16_64 0
		.amdhsa_float_denorm_mode_32 3
		.amdhsa_float_denorm_mode_16_64 3
		.amdhsa_fp16_overflow 0
		.amdhsa_workgroup_processor_mode 1
		.amdhsa_memory_ordered 1
		.amdhsa_forward_progress 1
		.amdhsa_inst_pref_size 83
		.amdhsa_round_robin_scheduling 0
		.amdhsa_exception_fp_ieee_invalid_op 0
		.amdhsa_exception_fp_denorm_src 0
		.amdhsa_exception_fp_ieee_div_zero 0
		.amdhsa_exception_fp_ieee_overflow 0
		.amdhsa_exception_fp_ieee_underflow 0
		.amdhsa_exception_fp_ieee_inexact 0
		.amdhsa_exception_int_div_zero 0
	.end_amdhsa_kernel
	.section	.text._ZN2ck19kernel_gemm_dl_v1r3INS_28GridwiseGemmDl_km_kn_mn_v1r3ILi256EDF16_fDF16_LNS_25InMemoryDataOperationEnumE0ENS_16TensorDescriptorINS_5TupleIJNS_5EmbedINS4_IJiiEEENS4_IJNS_17integral_constantIiLi1EEEiEEELb0EEENS_7UnMergeINS4_IJiNS7_IiLi2EEEEEELb0EEENS_11PassThroughIiEEEEENS4_IJNS_8SequenceIJLi0EEEENSI_IJLi2EEEENSI_IJLi1EEEEEEENS4_IJNSI_IJLi1ELi2EEEENSI_IJLi3ELi4EEEENSI_IJLi5EEEEEEENSI_IJLi3ELi5ELi4EEEElEENS3_INS4_IJNS5_IS6_NS4_IJiS8_EEELb0EEESE_SG_EEENS4_IJSJ_SL_SK_EEESQ_SR_lEENS3_INS4_IJSU_SG_SG_EEESW_NS4_IJSN_NSI_IJLi3EEEENSI_IJLi4EEEEEEESO_lEELi128ELi128ELi16ELi2ELi4ELi4ELi1ENSI_IJLi8ELi2EEEES13_NSI_IJLi2ELi1ELi4ELi2EEEENSI_IJLi8ELi1ELi32ELi1EEEENSI_IJLi0ELi3ELi1ELi2EEEES16_NSI_IJLi1ELi1ELi4ELi1EEEES16_NSI_IJLi1ELi1ELi4ELi2EEEES14_S15_S16_S16_S17_S16_S18_NSI_IJLi0ELi1ELi2ELi3ELi4ELi5EEEELi5ELi4EEEDF16_DF16_NS3_INS4_IJSA_SE_SG_SG_NSB_INS4_IJiNS7_IiLi128EEEEEELb0EEENSF_ISC_EEEEENS4_IJSJ_SK_SL_SZ_SP_S10_EEENS4_IJSN_SO_SP_NSI_IJLi6EEEENSI_IJLi7ELi8EEEENSI_IJLi9EEEEEEENSI_IJLi6ELi7ELi8ELi9EEEElEENS3_INS4_IJSU_SE_SG_SG_S1D_S1E_EEENS4_IJSJ_SL_SK_SZ_SP_S10_EEES1K_S1L_lEENS3_INS4_IJSU_SG_SG_NSB_INS4_IJiSC_NS7_IiLi64EEEEEELb0EEES1S_EEENS4_IJSJ_SL_SK_SZ_S10_EEENS4_IJSN_SZ_S10_NSI_IJLi5ELi6ELi7EEEENSI_IJLi8ELi9ELi10EEEEEEENSI_IJLi5ELi6ELi7ELi8ELi9ELi10EEEElEENS_31BlockToCTileMap_M00_N00_M01_N01ILi128ELi128ES12_Lb0EEELb0ELb0EEEvPKT0_S24_PT1_T2_T3_T4_T5_,"axG",@progbits,_ZN2ck19kernel_gemm_dl_v1r3INS_28GridwiseGemmDl_km_kn_mn_v1r3ILi256EDF16_fDF16_LNS_25InMemoryDataOperationEnumE0ENS_16TensorDescriptorINS_5TupleIJNS_5EmbedINS4_IJiiEEENS4_IJNS_17integral_constantIiLi1EEEiEEELb0EEENS_7UnMergeINS4_IJiNS7_IiLi2EEEEEELb0EEENS_11PassThroughIiEEEEENS4_IJNS_8SequenceIJLi0EEEENSI_IJLi2EEEENSI_IJLi1EEEEEEENS4_IJNSI_IJLi1ELi2EEEENSI_IJLi3ELi4EEEENSI_IJLi5EEEEEEENSI_IJLi3ELi5ELi4EEEElEENS3_INS4_IJNS5_IS6_NS4_IJiS8_EEELb0EEESE_SG_EEENS4_IJSJ_SL_SK_EEESQ_SR_lEENS3_INS4_IJSU_SG_SG_EEESW_NS4_IJSN_NSI_IJLi3EEEENSI_IJLi4EEEEEEESO_lEELi128ELi128ELi16ELi2ELi4ELi4ELi1ENSI_IJLi8ELi2EEEES13_NSI_IJLi2ELi1ELi4ELi2EEEENSI_IJLi8ELi1ELi32ELi1EEEENSI_IJLi0ELi3ELi1ELi2EEEES16_NSI_IJLi1ELi1ELi4ELi1EEEES16_NSI_IJLi1ELi1ELi4ELi2EEEES14_S15_S16_S16_S17_S16_S18_NSI_IJLi0ELi1ELi2ELi3ELi4ELi5EEEELi5ELi4EEEDF16_DF16_NS3_INS4_IJSA_SE_SG_SG_NSB_INS4_IJiNS7_IiLi128EEEEEELb0EEENSF_ISC_EEEEENS4_IJSJ_SK_SL_SZ_SP_S10_EEENS4_IJSN_SO_SP_NSI_IJLi6EEEENSI_IJLi7ELi8EEEENSI_IJLi9EEEEEEENSI_IJLi6ELi7ELi8ELi9EEEElEENS3_INS4_IJSU_SE_SG_SG_S1D_S1E_EEENS4_IJSJ_SL_SK_SZ_SP_S10_EEES1K_S1L_lEENS3_INS4_IJSU_SG_SG_NSB_INS4_IJiSC_NS7_IiLi64EEEEEELb0EEES1S_EEENS4_IJSJ_SL_SK_SZ_S10_EEENS4_IJSN_SZ_S10_NSI_IJLi5ELi6ELi7EEEENSI_IJLi8ELi9ELi10EEEEEEENSI_IJLi5ELi6ELi7ELi8ELi9ELi10EEEElEENS_31BlockToCTileMap_M00_N00_M01_N01ILi128ELi128ES12_Lb0EEELb0ELb0EEEvPKT0_S24_PT1_T2_T3_T4_T5_,comdat
.Lfunc_end4:
	.size	_ZN2ck19kernel_gemm_dl_v1r3INS_28GridwiseGemmDl_km_kn_mn_v1r3ILi256EDF16_fDF16_LNS_25InMemoryDataOperationEnumE0ENS_16TensorDescriptorINS_5TupleIJNS_5EmbedINS4_IJiiEEENS4_IJNS_17integral_constantIiLi1EEEiEEELb0EEENS_7UnMergeINS4_IJiNS7_IiLi2EEEEEELb0EEENS_11PassThroughIiEEEEENS4_IJNS_8SequenceIJLi0EEEENSI_IJLi2EEEENSI_IJLi1EEEEEEENS4_IJNSI_IJLi1ELi2EEEENSI_IJLi3ELi4EEEENSI_IJLi5EEEEEEENSI_IJLi3ELi5ELi4EEEElEENS3_INS4_IJNS5_IS6_NS4_IJiS8_EEELb0EEESE_SG_EEENS4_IJSJ_SL_SK_EEESQ_SR_lEENS3_INS4_IJSU_SG_SG_EEESW_NS4_IJSN_NSI_IJLi3EEEENSI_IJLi4EEEEEEESO_lEELi128ELi128ELi16ELi2ELi4ELi4ELi1ENSI_IJLi8ELi2EEEES13_NSI_IJLi2ELi1ELi4ELi2EEEENSI_IJLi8ELi1ELi32ELi1EEEENSI_IJLi0ELi3ELi1ELi2EEEES16_NSI_IJLi1ELi1ELi4ELi1EEEES16_NSI_IJLi1ELi1ELi4ELi2EEEES14_S15_S16_S16_S17_S16_S18_NSI_IJLi0ELi1ELi2ELi3ELi4ELi5EEEELi5ELi4EEEDF16_DF16_NS3_INS4_IJSA_SE_SG_SG_NSB_INS4_IJiNS7_IiLi128EEEEEELb0EEENSF_ISC_EEEEENS4_IJSJ_SK_SL_SZ_SP_S10_EEENS4_IJSN_SO_SP_NSI_IJLi6EEEENSI_IJLi7ELi8EEEENSI_IJLi9EEEEEEENSI_IJLi6ELi7ELi8ELi9EEEElEENS3_INS4_IJSU_SE_SG_SG_S1D_S1E_EEENS4_IJSJ_SL_SK_SZ_SP_S10_EEES1K_S1L_lEENS3_INS4_IJSU_SG_SG_NSB_INS4_IJiSC_NS7_IiLi64EEEEEELb0EEES1S_EEENS4_IJSJ_SL_SK_SZ_S10_EEENS4_IJSN_SZ_S10_NSI_IJLi5ELi6ELi7EEEENSI_IJLi8ELi9ELi10EEEEEEENSI_IJLi5ELi6ELi7ELi8ELi9ELi10EEEElEENS_31BlockToCTileMap_M00_N00_M01_N01ILi128ELi128ES12_Lb0EEELb0ELb0EEEvPKT0_S24_PT1_T2_T3_T4_T5_, .Lfunc_end4-_ZN2ck19kernel_gemm_dl_v1r3INS_28GridwiseGemmDl_km_kn_mn_v1r3ILi256EDF16_fDF16_LNS_25InMemoryDataOperationEnumE0ENS_16TensorDescriptorINS_5TupleIJNS_5EmbedINS4_IJiiEEENS4_IJNS_17integral_constantIiLi1EEEiEEELb0EEENS_7UnMergeINS4_IJiNS7_IiLi2EEEEEELb0EEENS_11PassThroughIiEEEEENS4_IJNS_8SequenceIJLi0EEEENSI_IJLi2EEEENSI_IJLi1EEEEEEENS4_IJNSI_IJLi1ELi2EEEENSI_IJLi3ELi4EEEENSI_IJLi5EEEEEEENSI_IJLi3ELi5ELi4EEEElEENS3_INS4_IJNS5_IS6_NS4_IJiS8_EEELb0EEESE_SG_EEENS4_IJSJ_SL_SK_EEESQ_SR_lEENS3_INS4_IJSU_SG_SG_EEESW_NS4_IJSN_NSI_IJLi3EEEENSI_IJLi4EEEEEEESO_lEELi128ELi128ELi16ELi2ELi4ELi4ELi1ENSI_IJLi8ELi2EEEES13_NSI_IJLi2ELi1ELi4ELi2EEEENSI_IJLi8ELi1ELi32ELi1EEEENSI_IJLi0ELi3ELi1ELi2EEEES16_NSI_IJLi1ELi1ELi4ELi1EEEES16_NSI_IJLi1ELi1ELi4ELi2EEEES14_S15_S16_S16_S17_S16_S18_NSI_IJLi0ELi1ELi2ELi3ELi4ELi5EEEELi5ELi4EEEDF16_DF16_NS3_INS4_IJSA_SE_SG_SG_NSB_INS4_IJiNS7_IiLi128EEEEEELb0EEENSF_ISC_EEEEENS4_IJSJ_SK_SL_SZ_SP_S10_EEENS4_IJSN_SO_SP_NSI_IJLi6EEEENSI_IJLi7ELi8EEEENSI_IJLi9EEEEEEENSI_IJLi6ELi7ELi8ELi9EEEElEENS3_INS4_IJSU_SE_SG_SG_S1D_S1E_EEENS4_IJSJ_SL_SK_SZ_SP_S10_EEES1K_S1L_lEENS3_INS4_IJSU_SG_SG_NSB_INS4_IJiSC_NS7_IiLi64EEEEEELb0EEES1S_EEENS4_IJSJ_SL_SK_SZ_S10_EEENS4_IJSN_SZ_S10_NSI_IJLi5ELi6ELi7EEEENSI_IJLi8ELi9ELi10EEEEEEENSI_IJLi5ELi6ELi7ELi8ELi9ELi10EEEElEENS_31BlockToCTileMap_M00_N00_M01_N01ILi128ELi128ES12_Lb0EEELb0ELb0EEEvPKT0_S24_PT1_T2_T3_T4_T5_
                                        ; -- End function
	.set _ZN2ck19kernel_gemm_dl_v1r3INS_28GridwiseGemmDl_km_kn_mn_v1r3ILi256EDF16_fDF16_LNS_25InMemoryDataOperationEnumE0ENS_16TensorDescriptorINS_5TupleIJNS_5EmbedINS4_IJiiEEENS4_IJNS_17integral_constantIiLi1EEEiEEELb0EEENS_7UnMergeINS4_IJiNS7_IiLi2EEEEEELb0EEENS_11PassThroughIiEEEEENS4_IJNS_8SequenceIJLi0EEEENSI_IJLi2EEEENSI_IJLi1EEEEEEENS4_IJNSI_IJLi1ELi2EEEENSI_IJLi3ELi4EEEENSI_IJLi5EEEEEEENSI_IJLi3ELi5ELi4EEEElEENS3_INS4_IJNS5_IS6_NS4_IJiS8_EEELb0EEESE_SG_EEENS4_IJSJ_SL_SK_EEESQ_SR_lEENS3_INS4_IJSU_SG_SG_EEESW_NS4_IJSN_NSI_IJLi3EEEENSI_IJLi4EEEEEEESO_lEELi128ELi128ELi16ELi2ELi4ELi4ELi1ENSI_IJLi8ELi2EEEES13_NSI_IJLi2ELi1ELi4ELi2EEEENSI_IJLi8ELi1ELi32ELi1EEEENSI_IJLi0ELi3ELi1ELi2EEEES16_NSI_IJLi1ELi1ELi4ELi1EEEES16_NSI_IJLi1ELi1ELi4ELi2EEEES14_S15_S16_S16_S17_S16_S18_NSI_IJLi0ELi1ELi2ELi3ELi4ELi5EEEELi5ELi4EEEDF16_DF16_NS3_INS4_IJSA_SE_SG_SG_NSB_INS4_IJiNS7_IiLi128EEEEEELb0EEENSF_ISC_EEEEENS4_IJSJ_SK_SL_SZ_SP_S10_EEENS4_IJSN_SO_SP_NSI_IJLi6EEEENSI_IJLi7ELi8EEEENSI_IJLi9EEEEEEENSI_IJLi6ELi7ELi8ELi9EEEElEENS3_INS4_IJSU_SE_SG_SG_S1D_S1E_EEENS4_IJSJ_SL_SK_SZ_SP_S10_EEES1K_S1L_lEENS3_INS4_IJSU_SG_SG_NSB_INS4_IJiSC_NS7_IiLi64EEEEEELb0EEES1S_EEENS4_IJSJ_SL_SK_SZ_S10_EEENS4_IJSN_SZ_S10_NSI_IJLi5ELi6ELi7EEEENSI_IJLi8ELi9ELi10EEEEEEENSI_IJLi5ELi6ELi7ELi8ELi9ELi10EEEElEENS_31BlockToCTileMap_M00_N00_M01_N01ILi128ELi128ES12_Lb0EEELb0ELb0EEEvPKT0_S24_PT1_T2_T3_T4_T5_.num_vgpr, 141
	.set _ZN2ck19kernel_gemm_dl_v1r3INS_28GridwiseGemmDl_km_kn_mn_v1r3ILi256EDF16_fDF16_LNS_25InMemoryDataOperationEnumE0ENS_16TensorDescriptorINS_5TupleIJNS_5EmbedINS4_IJiiEEENS4_IJNS_17integral_constantIiLi1EEEiEEELb0EEENS_7UnMergeINS4_IJiNS7_IiLi2EEEEEELb0EEENS_11PassThroughIiEEEEENS4_IJNS_8SequenceIJLi0EEEENSI_IJLi2EEEENSI_IJLi1EEEEEEENS4_IJNSI_IJLi1ELi2EEEENSI_IJLi3ELi4EEEENSI_IJLi5EEEEEEENSI_IJLi3ELi5ELi4EEEElEENS3_INS4_IJNS5_IS6_NS4_IJiS8_EEELb0EEESE_SG_EEENS4_IJSJ_SL_SK_EEESQ_SR_lEENS3_INS4_IJSU_SG_SG_EEESW_NS4_IJSN_NSI_IJLi3EEEENSI_IJLi4EEEEEEESO_lEELi128ELi128ELi16ELi2ELi4ELi4ELi1ENSI_IJLi8ELi2EEEES13_NSI_IJLi2ELi1ELi4ELi2EEEENSI_IJLi8ELi1ELi32ELi1EEEENSI_IJLi0ELi3ELi1ELi2EEEES16_NSI_IJLi1ELi1ELi4ELi1EEEES16_NSI_IJLi1ELi1ELi4ELi2EEEES14_S15_S16_S16_S17_S16_S18_NSI_IJLi0ELi1ELi2ELi3ELi4ELi5EEEELi5ELi4EEEDF16_DF16_NS3_INS4_IJSA_SE_SG_SG_NSB_INS4_IJiNS7_IiLi128EEEEEELb0EEENSF_ISC_EEEEENS4_IJSJ_SK_SL_SZ_SP_S10_EEENS4_IJSN_SO_SP_NSI_IJLi6EEEENSI_IJLi7ELi8EEEENSI_IJLi9EEEEEEENSI_IJLi6ELi7ELi8ELi9EEEElEENS3_INS4_IJSU_SE_SG_SG_S1D_S1E_EEENS4_IJSJ_SL_SK_SZ_SP_S10_EEES1K_S1L_lEENS3_INS4_IJSU_SG_SG_NSB_INS4_IJiSC_NS7_IiLi64EEEEEELb0EEES1S_EEENS4_IJSJ_SL_SK_SZ_S10_EEENS4_IJSN_SZ_S10_NSI_IJLi5ELi6ELi7EEEENSI_IJLi8ELi9ELi10EEEEEEENSI_IJLi5ELi6ELi7ELi8ELi9ELi10EEEElEENS_31BlockToCTileMap_M00_N00_M01_N01ILi128ELi128ES12_Lb0EEELb0ELb0EEEvPKT0_S24_PT1_T2_T3_T4_T5_.num_agpr, 0
	.set _ZN2ck19kernel_gemm_dl_v1r3INS_28GridwiseGemmDl_km_kn_mn_v1r3ILi256EDF16_fDF16_LNS_25InMemoryDataOperationEnumE0ENS_16TensorDescriptorINS_5TupleIJNS_5EmbedINS4_IJiiEEENS4_IJNS_17integral_constantIiLi1EEEiEEELb0EEENS_7UnMergeINS4_IJiNS7_IiLi2EEEEEELb0EEENS_11PassThroughIiEEEEENS4_IJNS_8SequenceIJLi0EEEENSI_IJLi2EEEENSI_IJLi1EEEEEEENS4_IJNSI_IJLi1ELi2EEEENSI_IJLi3ELi4EEEENSI_IJLi5EEEEEEENSI_IJLi3ELi5ELi4EEEElEENS3_INS4_IJNS5_IS6_NS4_IJiS8_EEELb0EEESE_SG_EEENS4_IJSJ_SL_SK_EEESQ_SR_lEENS3_INS4_IJSU_SG_SG_EEESW_NS4_IJSN_NSI_IJLi3EEEENSI_IJLi4EEEEEEESO_lEELi128ELi128ELi16ELi2ELi4ELi4ELi1ENSI_IJLi8ELi2EEEES13_NSI_IJLi2ELi1ELi4ELi2EEEENSI_IJLi8ELi1ELi32ELi1EEEENSI_IJLi0ELi3ELi1ELi2EEEES16_NSI_IJLi1ELi1ELi4ELi1EEEES16_NSI_IJLi1ELi1ELi4ELi2EEEES14_S15_S16_S16_S17_S16_S18_NSI_IJLi0ELi1ELi2ELi3ELi4ELi5EEEELi5ELi4EEEDF16_DF16_NS3_INS4_IJSA_SE_SG_SG_NSB_INS4_IJiNS7_IiLi128EEEEEELb0EEENSF_ISC_EEEEENS4_IJSJ_SK_SL_SZ_SP_S10_EEENS4_IJSN_SO_SP_NSI_IJLi6EEEENSI_IJLi7ELi8EEEENSI_IJLi9EEEEEEENSI_IJLi6ELi7ELi8ELi9EEEElEENS3_INS4_IJSU_SE_SG_SG_S1D_S1E_EEENS4_IJSJ_SL_SK_SZ_SP_S10_EEES1K_S1L_lEENS3_INS4_IJSU_SG_SG_NSB_INS4_IJiSC_NS7_IiLi64EEEEEELb0EEES1S_EEENS4_IJSJ_SL_SK_SZ_S10_EEENS4_IJSN_SZ_S10_NSI_IJLi5ELi6ELi7EEEENSI_IJLi8ELi9ELi10EEEEEEENSI_IJLi5ELi6ELi7ELi8ELi9ELi10EEEElEENS_31BlockToCTileMap_M00_N00_M01_N01ILi128ELi128ES12_Lb0EEELb0ELb0EEEvPKT0_S24_PT1_T2_T3_T4_T5_.numbered_sgpr, 27
	.set _ZN2ck19kernel_gemm_dl_v1r3INS_28GridwiseGemmDl_km_kn_mn_v1r3ILi256EDF16_fDF16_LNS_25InMemoryDataOperationEnumE0ENS_16TensorDescriptorINS_5TupleIJNS_5EmbedINS4_IJiiEEENS4_IJNS_17integral_constantIiLi1EEEiEEELb0EEENS_7UnMergeINS4_IJiNS7_IiLi2EEEEEELb0EEENS_11PassThroughIiEEEEENS4_IJNS_8SequenceIJLi0EEEENSI_IJLi2EEEENSI_IJLi1EEEEEEENS4_IJNSI_IJLi1ELi2EEEENSI_IJLi3ELi4EEEENSI_IJLi5EEEEEEENSI_IJLi3ELi5ELi4EEEElEENS3_INS4_IJNS5_IS6_NS4_IJiS8_EEELb0EEESE_SG_EEENS4_IJSJ_SL_SK_EEESQ_SR_lEENS3_INS4_IJSU_SG_SG_EEESW_NS4_IJSN_NSI_IJLi3EEEENSI_IJLi4EEEEEEESO_lEELi128ELi128ELi16ELi2ELi4ELi4ELi1ENSI_IJLi8ELi2EEEES13_NSI_IJLi2ELi1ELi4ELi2EEEENSI_IJLi8ELi1ELi32ELi1EEEENSI_IJLi0ELi3ELi1ELi2EEEES16_NSI_IJLi1ELi1ELi4ELi1EEEES16_NSI_IJLi1ELi1ELi4ELi2EEEES14_S15_S16_S16_S17_S16_S18_NSI_IJLi0ELi1ELi2ELi3ELi4ELi5EEEELi5ELi4EEEDF16_DF16_NS3_INS4_IJSA_SE_SG_SG_NSB_INS4_IJiNS7_IiLi128EEEEEELb0EEENSF_ISC_EEEEENS4_IJSJ_SK_SL_SZ_SP_S10_EEENS4_IJSN_SO_SP_NSI_IJLi6EEEENSI_IJLi7ELi8EEEENSI_IJLi9EEEEEEENSI_IJLi6ELi7ELi8ELi9EEEElEENS3_INS4_IJSU_SE_SG_SG_S1D_S1E_EEENS4_IJSJ_SL_SK_SZ_SP_S10_EEES1K_S1L_lEENS3_INS4_IJSU_SG_SG_NSB_INS4_IJiSC_NS7_IiLi64EEEEEELb0EEES1S_EEENS4_IJSJ_SL_SK_SZ_S10_EEENS4_IJSN_SZ_S10_NSI_IJLi5ELi6ELi7EEEENSI_IJLi8ELi9ELi10EEEEEEENSI_IJLi5ELi6ELi7ELi8ELi9ELi10EEEElEENS_31BlockToCTileMap_M00_N00_M01_N01ILi128ELi128ES12_Lb0EEELb0ELb0EEEvPKT0_S24_PT1_T2_T3_T4_T5_.num_named_barrier, 0
	.set _ZN2ck19kernel_gemm_dl_v1r3INS_28GridwiseGemmDl_km_kn_mn_v1r3ILi256EDF16_fDF16_LNS_25InMemoryDataOperationEnumE0ENS_16TensorDescriptorINS_5TupleIJNS_5EmbedINS4_IJiiEEENS4_IJNS_17integral_constantIiLi1EEEiEEELb0EEENS_7UnMergeINS4_IJiNS7_IiLi2EEEEEELb0EEENS_11PassThroughIiEEEEENS4_IJNS_8SequenceIJLi0EEEENSI_IJLi2EEEENSI_IJLi1EEEEEEENS4_IJNSI_IJLi1ELi2EEEENSI_IJLi3ELi4EEEENSI_IJLi5EEEEEEENSI_IJLi3ELi5ELi4EEEElEENS3_INS4_IJNS5_IS6_NS4_IJiS8_EEELb0EEESE_SG_EEENS4_IJSJ_SL_SK_EEESQ_SR_lEENS3_INS4_IJSU_SG_SG_EEESW_NS4_IJSN_NSI_IJLi3EEEENSI_IJLi4EEEEEEESO_lEELi128ELi128ELi16ELi2ELi4ELi4ELi1ENSI_IJLi8ELi2EEEES13_NSI_IJLi2ELi1ELi4ELi2EEEENSI_IJLi8ELi1ELi32ELi1EEEENSI_IJLi0ELi3ELi1ELi2EEEES16_NSI_IJLi1ELi1ELi4ELi1EEEES16_NSI_IJLi1ELi1ELi4ELi2EEEES14_S15_S16_S16_S17_S16_S18_NSI_IJLi0ELi1ELi2ELi3ELi4ELi5EEEELi5ELi4EEEDF16_DF16_NS3_INS4_IJSA_SE_SG_SG_NSB_INS4_IJiNS7_IiLi128EEEEEELb0EEENSF_ISC_EEEEENS4_IJSJ_SK_SL_SZ_SP_S10_EEENS4_IJSN_SO_SP_NSI_IJLi6EEEENSI_IJLi7ELi8EEEENSI_IJLi9EEEEEEENSI_IJLi6ELi7ELi8ELi9EEEElEENS3_INS4_IJSU_SE_SG_SG_S1D_S1E_EEENS4_IJSJ_SL_SK_SZ_SP_S10_EEES1K_S1L_lEENS3_INS4_IJSU_SG_SG_NSB_INS4_IJiSC_NS7_IiLi64EEEEEELb0EEES1S_EEENS4_IJSJ_SL_SK_SZ_S10_EEENS4_IJSN_SZ_S10_NSI_IJLi5ELi6ELi7EEEENSI_IJLi8ELi9ELi10EEEEEEENSI_IJLi5ELi6ELi7ELi8ELi9ELi10EEEElEENS_31BlockToCTileMap_M00_N00_M01_N01ILi128ELi128ES12_Lb0EEELb0ELb0EEEvPKT0_S24_PT1_T2_T3_T4_T5_.private_seg_size, 0
	.set _ZN2ck19kernel_gemm_dl_v1r3INS_28GridwiseGemmDl_km_kn_mn_v1r3ILi256EDF16_fDF16_LNS_25InMemoryDataOperationEnumE0ENS_16TensorDescriptorINS_5TupleIJNS_5EmbedINS4_IJiiEEENS4_IJNS_17integral_constantIiLi1EEEiEEELb0EEENS_7UnMergeINS4_IJiNS7_IiLi2EEEEEELb0EEENS_11PassThroughIiEEEEENS4_IJNS_8SequenceIJLi0EEEENSI_IJLi2EEEENSI_IJLi1EEEEEEENS4_IJNSI_IJLi1ELi2EEEENSI_IJLi3ELi4EEEENSI_IJLi5EEEEEEENSI_IJLi3ELi5ELi4EEEElEENS3_INS4_IJNS5_IS6_NS4_IJiS8_EEELb0EEESE_SG_EEENS4_IJSJ_SL_SK_EEESQ_SR_lEENS3_INS4_IJSU_SG_SG_EEESW_NS4_IJSN_NSI_IJLi3EEEENSI_IJLi4EEEEEEESO_lEELi128ELi128ELi16ELi2ELi4ELi4ELi1ENSI_IJLi8ELi2EEEES13_NSI_IJLi2ELi1ELi4ELi2EEEENSI_IJLi8ELi1ELi32ELi1EEEENSI_IJLi0ELi3ELi1ELi2EEEES16_NSI_IJLi1ELi1ELi4ELi1EEEES16_NSI_IJLi1ELi1ELi4ELi2EEEES14_S15_S16_S16_S17_S16_S18_NSI_IJLi0ELi1ELi2ELi3ELi4ELi5EEEELi5ELi4EEEDF16_DF16_NS3_INS4_IJSA_SE_SG_SG_NSB_INS4_IJiNS7_IiLi128EEEEEELb0EEENSF_ISC_EEEEENS4_IJSJ_SK_SL_SZ_SP_S10_EEENS4_IJSN_SO_SP_NSI_IJLi6EEEENSI_IJLi7ELi8EEEENSI_IJLi9EEEEEEENSI_IJLi6ELi7ELi8ELi9EEEElEENS3_INS4_IJSU_SE_SG_SG_S1D_S1E_EEENS4_IJSJ_SL_SK_SZ_SP_S10_EEES1K_S1L_lEENS3_INS4_IJSU_SG_SG_NSB_INS4_IJiSC_NS7_IiLi64EEEEEELb0EEES1S_EEENS4_IJSJ_SL_SK_SZ_S10_EEENS4_IJSN_SZ_S10_NSI_IJLi5ELi6ELi7EEEENSI_IJLi8ELi9ELi10EEEEEEENSI_IJLi5ELi6ELi7ELi8ELi9ELi10EEEElEENS_31BlockToCTileMap_M00_N00_M01_N01ILi128ELi128ES12_Lb0EEELb0ELb0EEEvPKT0_S24_PT1_T2_T3_T4_T5_.uses_vcc, 0
	.set _ZN2ck19kernel_gemm_dl_v1r3INS_28GridwiseGemmDl_km_kn_mn_v1r3ILi256EDF16_fDF16_LNS_25InMemoryDataOperationEnumE0ENS_16TensorDescriptorINS_5TupleIJNS_5EmbedINS4_IJiiEEENS4_IJNS_17integral_constantIiLi1EEEiEEELb0EEENS_7UnMergeINS4_IJiNS7_IiLi2EEEEEELb0EEENS_11PassThroughIiEEEEENS4_IJNS_8SequenceIJLi0EEEENSI_IJLi2EEEENSI_IJLi1EEEEEEENS4_IJNSI_IJLi1ELi2EEEENSI_IJLi3ELi4EEEENSI_IJLi5EEEEEEENSI_IJLi3ELi5ELi4EEEElEENS3_INS4_IJNS5_IS6_NS4_IJiS8_EEELb0EEESE_SG_EEENS4_IJSJ_SL_SK_EEESQ_SR_lEENS3_INS4_IJSU_SG_SG_EEESW_NS4_IJSN_NSI_IJLi3EEEENSI_IJLi4EEEEEEESO_lEELi128ELi128ELi16ELi2ELi4ELi4ELi1ENSI_IJLi8ELi2EEEES13_NSI_IJLi2ELi1ELi4ELi2EEEENSI_IJLi8ELi1ELi32ELi1EEEENSI_IJLi0ELi3ELi1ELi2EEEES16_NSI_IJLi1ELi1ELi4ELi1EEEES16_NSI_IJLi1ELi1ELi4ELi2EEEES14_S15_S16_S16_S17_S16_S18_NSI_IJLi0ELi1ELi2ELi3ELi4ELi5EEEELi5ELi4EEEDF16_DF16_NS3_INS4_IJSA_SE_SG_SG_NSB_INS4_IJiNS7_IiLi128EEEEEELb0EEENSF_ISC_EEEEENS4_IJSJ_SK_SL_SZ_SP_S10_EEENS4_IJSN_SO_SP_NSI_IJLi6EEEENSI_IJLi7ELi8EEEENSI_IJLi9EEEEEEENSI_IJLi6ELi7ELi8ELi9EEEElEENS3_INS4_IJSU_SE_SG_SG_S1D_S1E_EEENS4_IJSJ_SL_SK_SZ_SP_S10_EEES1K_S1L_lEENS3_INS4_IJSU_SG_SG_NSB_INS4_IJiSC_NS7_IiLi64EEEEEELb0EEES1S_EEENS4_IJSJ_SL_SK_SZ_S10_EEENS4_IJSN_SZ_S10_NSI_IJLi5ELi6ELi7EEEENSI_IJLi8ELi9ELi10EEEEEEENSI_IJLi5ELi6ELi7ELi8ELi9ELi10EEEElEENS_31BlockToCTileMap_M00_N00_M01_N01ILi128ELi128ES12_Lb0EEELb0ELb0EEEvPKT0_S24_PT1_T2_T3_T4_T5_.uses_flat_scratch, 0
	.set _ZN2ck19kernel_gemm_dl_v1r3INS_28GridwiseGemmDl_km_kn_mn_v1r3ILi256EDF16_fDF16_LNS_25InMemoryDataOperationEnumE0ENS_16TensorDescriptorINS_5TupleIJNS_5EmbedINS4_IJiiEEENS4_IJNS_17integral_constantIiLi1EEEiEEELb0EEENS_7UnMergeINS4_IJiNS7_IiLi2EEEEEELb0EEENS_11PassThroughIiEEEEENS4_IJNS_8SequenceIJLi0EEEENSI_IJLi2EEEENSI_IJLi1EEEEEEENS4_IJNSI_IJLi1ELi2EEEENSI_IJLi3ELi4EEEENSI_IJLi5EEEEEEENSI_IJLi3ELi5ELi4EEEElEENS3_INS4_IJNS5_IS6_NS4_IJiS8_EEELb0EEESE_SG_EEENS4_IJSJ_SL_SK_EEESQ_SR_lEENS3_INS4_IJSU_SG_SG_EEESW_NS4_IJSN_NSI_IJLi3EEEENSI_IJLi4EEEEEEESO_lEELi128ELi128ELi16ELi2ELi4ELi4ELi1ENSI_IJLi8ELi2EEEES13_NSI_IJLi2ELi1ELi4ELi2EEEENSI_IJLi8ELi1ELi32ELi1EEEENSI_IJLi0ELi3ELi1ELi2EEEES16_NSI_IJLi1ELi1ELi4ELi1EEEES16_NSI_IJLi1ELi1ELi4ELi2EEEES14_S15_S16_S16_S17_S16_S18_NSI_IJLi0ELi1ELi2ELi3ELi4ELi5EEEELi5ELi4EEEDF16_DF16_NS3_INS4_IJSA_SE_SG_SG_NSB_INS4_IJiNS7_IiLi128EEEEEELb0EEENSF_ISC_EEEEENS4_IJSJ_SK_SL_SZ_SP_S10_EEENS4_IJSN_SO_SP_NSI_IJLi6EEEENSI_IJLi7ELi8EEEENSI_IJLi9EEEEEEENSI_IJLi6ELi7ELi8ELi9EEEElEENS3_INS4_IJSU_SE_SG_SG_S1D_S1E_EEENS4_IJSJ_SL_SK_SZ_SP_S10_EEES1K_S1L_lEENS3_INS4_IJSU_SG_SG_NSB_INS4_IJiSC_NS7_IiLi64EEEEEELb0EEES1S_EEENS4_IJSJ_SL_SK_SZ_S10_EEENS4_IJSN_SZ_S10_NSI_IJLi5ELi6ELi7EEEENSI_IJLi8ELi9ELi10EEEEEEENSI_IJLi5ELi6ELi7ELi8ELi9ELi10EEEElEENS_31BlockToCTileMap_M00_N00_M01_N01ILi128ELi128ES12_Lb0EEELb0ELb0EEEvPKT0_S24_PT1_T2_T3_T4_T5_.has_dyn_sized_stack, 0
	.set _ZN2ck19kernel_gemm_dl_v1r3INS_28GridwiseGemmDl_km_kn_mn_v1r3ILi256EDF16_fDF16_LNS_25InMemoryDataOperationEnumE0ENS_16TensorDescriptorINS_5TupleIJNS_5EmbedINS4_IJiiEEENS4_IJNS_17integral_constantIiLi1EEEiEEELb0EEENS_7UnMergeINS4_IJiNS7_IiLi2EEEEEELb0EEENS_11PassThroughIiEEEEENS4_IJNS_8SequenceIJLi0EEEENSI_IJLi2EEEENSI_IJLi1EEEEEEENS4_IJNSI_IJLi1ELi2EEEENSI_IJLi3ELi4EEEENSI_IJLi5EEEEEEENSI_IJLi3ELi5ELi4EEEElEENS3_INS4_IJNS5_IS6_NS4_IJiS8_EEELb0EEESE_SG_EEENS4_IJSJ_SL_SK_EEESQ_SR_lEENS3_INS4_IJSU_SG_SG_EEESW_NS4_IJSN_NSI_IJLi3EEEENSI_IJLi4EEEEEEESO_lEELi128ELi128ELi16ELi2ELi4ELi4ELi1ENSI_IJLi8ELi2EEEES13_NSI_IJLi2ELi1ELi4ELi2EEEENSI_IJLi8ELi1ELi32ELi1EEEENSI_IJLi0ELi3ELi1ELi2EEEES16_NSI_IJLi1ELi1ELi4ELi1EEEES16_NSI_IJLi1ELi1ELi4ELi2EEEES14_S15_S16_S16_S17_S16_S18_NSI_IJLi0ELi1ELi2ELi3ELi4ELi5EEEELi5ELi4EEEDF16_DF16_NS3_INS4_IJSA_SE_SG_SG_NSB_INS4_IJiNS7_IiLi128EEEEEELb0EEENSF_ISC_EEEEENS4_IJSJ_SK_SL_SZ_SP_S10_EEENS4_IJSN_SO_SP_NSI_IJLi6EEEENSI_IJLi7ELi8EEEENSI_IJLi9EEEEEEENSI_IJLi6ELi7ELi8ELi9EEEElEENS3_INS4_IJSU_SE_SG_SG_S1D_S1E_EEENS4_IJSJ_SL_SK_SZ_SP_S10_EEES1K_S1L_lEENS3_INS4_IJSU_SG_SG_NSB_INS4_IJiSC_NS7_IiLi64EEEEEELb0EEES1S_EEENS4_IJSJ_SL_SK_SZ_S10_EEENS4_IJSN_SZ_S10_NSI_IJLi5ELi6ELi7EEEENSI_IJLi8ELi9ELi10EEEEEEENSI_IJLi5ELi6ELi7ELi8ELi9ELi10EEEElEENS_31BlockToCTileMap_M00_N00_M01_N01ILi128ELi128ES12_Lb0EEELb0ELb0EEEvPKT0_S24_PT1_T2_T3_T4_T5_.has_recursion, 0
	.set _ZN2ck19kernel_gemm_dl_v1r3INS_28GridwiseGemmDl_km_kn_mn_v1r3ILi256EDF16_fDF16_LNS_25InMemoryDataOperationEnumE0ENS_16TensorDescriptorINS_5TupleIJNS_5EmbedINS4_IJiiEEENS4_IJNS_17integral_constantIiLi1EEEiEEELb0EEENS_7UnMergeINS4_IJiNS7_IiLi2EEEEEELb0EEENS_11PassThroughIiEEEEENS4_IJNS_8SequenceIJLi0EEEENSI_IJLi2EEEENSI_IJLi1EEEEEEENS4_IJNSI_IJLi1ELi2EEEENSI_IJLi3ELi4EEEENSI_IJLi5EEEEEEENSI_IJLi3ELi5ELi4EEEElEENS3_INS4_IJNS5_IS6_NS4_IJiS8_EEELb0EEESE_SG_EEENS4_IJSJ_SL_SK_EEESQ_SR_lEENS3_INS4_IJSU_SG_SG_EEESW_NS4_IJSN_NSI_IJLi3EEEENSI_IJLi4EEEEEEESO_lEELi128ELi128ELi16ELi2ELi4ELi4ELi1ENSI_IJLi8ELi2EEEES13_NSI_IJLi2ELi1ELi4ELi2EEEENSI_IJLi8ELi1ELi32ELi1EEEENSI_IJLi0ELi3ELi1ELi2EEEES16_NSI_IJLi1ELi1ELi4ELi1EEEES16_NSI_IJLi1ELi1ELi4ELi2EEEES14_S15_S16_S16_S17_S16_S18_NSI_IJLi0ELi1ELi2ELi3ELi4ELi5EEEELi5ELi4EEEDF16_DF16_NS3_INS4_IJSA_SE_SG_SG_NSB_INS4_IJiNS7_IiLi128EEEEEELb0EEENSF_ISC_EEEEENS4_IJSJ_SK_SL_SZ_SP_S10_EEENS4_IJSN_SO_SP_NSI_IJLi6EEEENSI_IJLi7ELi8EEEENSI_IJLi9EEEEEEENSI_IJLi6ELi7ELi8ELi9EEEElEENS3_INS4_IJSU_SE_SG_SG_S1D_S1E_EEENS4_IJSJ_SL_SK_SZ_SP_S10_EEES1K_S1L_lEENS3_INS4_IJSU_SG_SG_NSB_INS4_IJiSC_NS7_IiLi64EEEEEELb0EEES1S_EEENS4_IJSJ_SL_SK_SZ_S10_EEENS4_IJSN_SZ_S10_NSI_IJLi5ELi6ELi7EEEENSI_IJLi8ELi9ELi10EEEEEEENSI_IJLi5ELi6ELi7ELi8ELi9ELi10EEEElEENS_31BlockToCTileMap_M00_N00_M01_N01ILi128ELi128ES12_Lb0EEELb0ELb0EEEvPKT0_S24_PT1_T2_T3_T4_T5_.has_indirect_call, 0
	.section	.AMDGPU.csdata,"",@progbits
; Kernel info:
; codeLenInByte = 10624
; TotalNumSgprs: 27
; NumVgprs: 141
; ScratchSize: 0
; MemoryBound: 0
; FloatMode: 240
; IeeeMode: 1
; LDSByteSize: 32768 bytes/workgroup (compile time only)
; SGPRBlocks: 0
; VGPRBlocks: 21
; NumSGPRsForWavesPerEU: 27
; NumVGPRsForWavesPerEU: 169
; Occupancy: 8
; WaveLimiterHint : 0
; COMPUTE_PGM_RSRC2:SCRATCH_EN: 0
; COMPUTE_PGM_RSRC2:USER_SGPR: 2
; COMPUTE_PGM_RSRC2:TRAP_HANDLER: 0
; COMPUTE_PGM_RSRC2:TGID_X_EN: 1
; COMPUTE_PGM_RSRC2:TGID_Y_EN: 0
; COMPUTE_PGM_RSRC2:TGID_Z_EN: 0
; COMPUTE_PGM_RSRC2:TIDIG_COMP_CNT: 0
	.section	.text._ZN2ck17naive_gemm_kernelINS_13tensor_layout4gemm11ColumnMajorENS2_8RowMajorES4_DF16_DF16_DF16_fNS_16tensor_operation12element_wise11PassThroughES7_S7_DF16_DF16_EEvPKT2_PKT3_PT4_iiiT6_T7_T8_,"axG",@progbits,_ZN2ck17naive_gemm_kernelINS_13tensor_layout4gemm11ColumnMajorENS2_8RowMajorES4_DF16_DF16_DF16_fNS_16tensor_operation12element_wise11PassThroughES7_S7_DF16_DF16_EEvPKT2_PKT3_PT4_iiiT6_T7_T8_,comdat
	.protected	_ZN2ck17naive_gemm_kernelINS_13tensor_layout4gemm11ColumnMajorENS2_8RowMajorES4_DF16_DF16_DF16_fNS_16tensor_operation12element_wise11PassThroughES7_S7_DF16_DF16_EEvPKT2_PKT3_PT4_iiiT6_T7_T8_ ; -- Begin function _ZN2ck17naive_gemm_kernelINS_13tensor_layout4gemm11ColumnMajorENS2_8RowMajorES4_DF16_DF16_DF16_fNS_16tensor_operation12element_wise11PassThroughES7_S7_DF16_DF16_EEvPKT2_PKT3_PT4_iiiT6_T7_T8_
	.globl	_ZN2ck17naive_gemm_kernelINS_13tensor_layout4gemm11ColumnMajorENS2_8RowMajorES4_DF16_DF16_DF16_fNS_16tensor_operation12element_wise11PassThroughES7_S7_DF16_DF16_EEvPKT2_PKT3_PT4_iiiT6_T7_T8_
	.p2align	8
	.type	_ZN2ck17naive_gemm_kernelINS_13tensor_layout4gemm11ColumnMajorENS2_8RowMajorES4_DF16_DF16_DF16_fNS_16tensor_operation12element_wise11PassThroughES7_S7_DF16_DF16_EEvPKT2_PKT3_PT4_iiiT6_T7_T8_,@function
_ZN2ck17naive_gemm_kernelINS_13tensor_layout4gemm11ColumnMajorENS2_8RowMajorES4_DF16_DF16_DF16_fNS_16tensor_operation12element_wise11PassThroughES7_S7_DF16_DF16_EEvPKT2_PKT3_PT4_iiiT6_T7_T8_: ; @_ZN2ck17naive_gemm_kernelINS_13tensor_layout4gemm11ColumnMajorENS2_8RowMajorES4_DF16_DF16_DF16_fNS_16tensor_operation12element_wise11PassThroughES7_S7_DF16_DF16_EEvPKT2_PKT3_PT4_iiiT6_T7_T8_
; %bb.0:
	s_clause 0x1
	s_load_b32 s2, s[0:1], 0x34
	s_load_b96 s[4:6], s[0:1], 0x18
	v_and_b32_e32 v1, 0x3ff, v0
	v_bfe_u32 v2, v0, 10, 10
	s_wait_kmcnt 0x0
	s_lshr_b32 s3, s2, 16
	s_and_b32 s2, s2, 0xffff
	s_delay_alu instid0(VALU_DEP_1) | instid1(SALU_CYCLE_1)
	v_mad_co_u64_u32 v[0:1], null, ttmp9, s2, v[1:2]
	v_mad_co_u64_u32 v[1:2], null, ttmp7, s3, v[2:3]
	s_delay_alu instid0(VALU_DEP_2) | instskip(NEXT) | instid1(VALU_DEP_2)
	v_cmp_gt_i32_e32 vcc_lo, s4, v0
	v_cmp_gt_i32_e64 s2, s5, v1
	s_and_b32 s2, vcc_lo, s2
	s_wait_alu 0xfffe
	s_and_saveexec_b32 s3, s2
	s_cbranch_execz .LBB5_7
; %bb.1:
	s_load_b64 s[8:9], s[0:1], 0x10
	s_cmp_lt_i32 s6, 1
	s_cbranch_scc1 .LBB5_5
; %bb.2:
	s_load_b128 s[0:3], s[0:1], 0x0
	v_mov_b32_e32 v6, 0
	v_mov_b32_e32 v2, v0
	;; [unrolled: 1-line block ×3, first 2 shown]
.LBB5_3:                                ; =>This Inner Loop Header: Depth=1
	s_delay_alu instid0(VALU_DEP_2) | instskip(NEXT) | instid1(VALU_DEP_2)
	v_ashrrev_i32_e32 v3, 31, v2
	v_ashrrev_i32_e32 v5, 31, v4
	s_add_co_i32 s6, s6, -1
	s_delay_alu instid0(SALU_CYCLE_1) | instskip(NEXT) | instid1(VALU_DEP_2)
	s_cmp_eq_u32 s6, 0
	v_lshlrev_b64_e32 v[7:8], 1, v[2:3]
	s_delay_alu instid0(VALU_DEP_2) | instskip(SKIP_3) | instid1(VALU_DEP_4)
	v_lshlrev_b64_e32 v[9:10], 1, v[4:5]
	v_add_nc_u32_e32 v4, s5, v4
	v_add_nc_u32_e32 v2, s4, v2
	s_wait_kmcnt 0x0
	v_add_co_u32 v7, vcc_lo, s0, v7
	s_wait_alu 0xfffd
	v_add_co_ci_u32_e64 v8, null, s1, v8, vcc_lo
	v_add_co_u32 v9, vcc_lo, s2, v9
	s_wait_alu 0xfffd
	v_add_co_ci_u32_e64 v10, null, s3, v10, vcc_lo
	global_load_u16 v3, v[7:8], off
	global_load_u16 v5, v[9:10], off
	s_wait_loadcnt 0x0
	v_fma_mix_f32 v6, v3, v5, v6 op_sel_hi:[1,1,0]
	s_cbranch_scc0 .LBB5_3
; %bb.4:
	s_delay_alu instid0(VALU_DEP_1)
	v_cvt_f16_f32_e32 v2, v6
	s_branch .LBB5_6
.LBB5_5:
	v_mov_b32_e32 v2, 0
.LBB5_6:
	s_delay_alu instid0(VALU_DEP_1) | instskip(NEXT) | instid1(VALU_DEP_1)
	v_mad_co_u64_u32 v[0:1], null, v0, s5, v[1:2]
	v_ashrrev_i32_e32 v1, 31, v0
	s_delay_alu instid0(VALU_DEP_1) | instskip(SKIP_1) | instid1(VALU_DEP_1)
	v_lshlrev_b64_e32 v[0:1], 1, v[0:1]
	s_wait_kmcnt 0x0
	v_add_co_u32 v0, vcc_lo, s8, v0
	s_wait_alu 0xfffd
	s_delay_alu instid0(VALU_DEP_2)
	v_add_co_ci_u32_e64 v1, null, s9, v1, vcc_lo
	global_store_b16 v[0:1], v2, off
.LBB5_7:
	s_endpgm
	.section	.rodata,"a",@progbits
	.p2align	6, 0x0
	.amdhsa_kernel _ZN2ck17naive_gemm_kernelINS_13tensor_layout4gemm11ColumnMajorENS2_8RowMajorES4_DF16_DF16_DF16_fNS_16tensor_operation12element_wise11PassThroughES7_S7_DF16_DF16_EEvPKT2_PKT3_PT4_iiiT6_T7_T8_
		.amdhsa_group_segment_fixed_size 0
		.amdhsa_private_segment_fixed_size 0
		.amdhsa_kernarg_size 296
		.amdhsa_user_sgpr_count 2
		.amdhsa_user_sgpr_dispatch_ptr 0
		.amdhsa_user_sgpr_queue_ptr 0
		.amdhsa_user_sgpr_kernarg_segment_ptr 1
		.amdhsa_user_sgpr_dispatch_id 0
		.amdhsa_user_sgpr_private_segment_size 0
		.amdhsa_wavefront_size32 1
		.amdhsa_uses_dynamic_stack 0
		.amdhsa_enable_private_segment 0
		.amdhsa_system_sgpr_workgroup_id_x 1
		.amdhsa_system_sgpr_workgroup_id_y 1
		.amdhsa_system_sgpr_workgroup_id_z 0
		.amdhsa_system_sgpr_workgroup_info 0
		.amdhsa_system_vgpr_workitem_id 1
		.amdhsa_next_free_vgpr 11
		.amdhsa_next_free_sgpr 10
		.amdhsa_reserve_vcc 1
		.amdhsa_float_round_mode_32 0
		.amdhsa_float_round_mode_16_64 0
		.amdhsa_float_denorm_mode_32 3
		.amdhsa_float_denorm_mode_16_64 3
		.amdhsa_fp16_overflow 0
		.amdhsa_workgroup_processor_mode 1
		.amdhsa_memory_ordered 1
		.amdhsa_forward_progress 1
		.amdhsa_inst_pref_size 3
		.amdhsa_round_robin_scheduling 0
		.amdhsa_exception_fp_ieee_invalid_op 0
		.amdhsa_exception_fp_denorm_src 0
		.amdhsa_exception_fp_ieee_div_zero 0
		.amdhsa_exception_fp_ieee_overflow 0
		.amdhsa_exception_fp_ieee_underflow 0
		.amdhsa_exception_fp_ieee_inexact 0
		.amdhsa_exception_int_div_zero 0
	.end_amdhsa_kernel
	.section	.text._ZN2ck17naive_gemm_kernelINS_13tensor_layout4gemm11ColumnMajorENS2_8RowMajorES4_DF16_DF16_DF16_fNS_16tensor_operation12element_wise11PassThroughES7_S7_DF16_DF16_EEvPKT2_PKT3_PT4_iiiT6_T7_T8_,"axG",@progbits,_ZN2ck17naive_gemm_kernelINS_13tensor_layout4gemm11ColumnMajorENS2_8RowMajorES4_DF16_DF16_DF16_fNS_16tensor_operation12element_wise11PassThroughES7_S7_DF16_DF16_EEvPKT2_PKT3_PT4_iiiT6_T7_T8_,comdat
.Lfunc_end5:
	.size	_ZN2ck17naive_gemm_kernelINS_13tensor_layout4gemm11ColumnMajorENS2_8RowMajorES4_DF16_DF16_DF16_fNS_16tensor_operation12element_wise11PassThroughES7_S7_DF16_DF16_EEvPKT2_PKT3_PT4_iiiT6_T7_T8_, .Lfunc_end5-_ZN2ck17naive_gemm_kernelINS_13tensor_layout4gemm11ColumnMajorENS2_8RowMajorES4_DF16_DF16_DF16_fNS_16tensor_operation12element_wise11PassThroughES7_S7_DF16_DF16_EEvPKT2_PKT3_PT4_iiiT6_T7_T8_
                                        ; -- End function
	.set _ZN2ck17naive_gemm_kernelINS_13tensor_layout4gemm11ColumnMajorENS2_8RowMajorES4_DF16_DF16_DF16_fNS_16tensor_operation12element_wise11PassThroughES7_S7_DF16_DF16_EEvPKT2_PKT3_PT4_iiiT6_T7_T8_.num_vgpr, 11
	.set _ZN2ck17naive_gemm_kernelINS_13tensor_layout4gemm11ColumnMajorENS2_8RowMajorES4_DF16_DF16_DF16_fNS_16tensor_operation12element_wise11PassThroughES7_S7_DF16_DF16_EEvPKT2_PKT3_PT4_iiiT6_T7_T8_.num_agpr, 0
	.set _ZN2ck17naive_gemm_kernelINS_13tensor_layout4gemm11ColumnMajorENS2_8RowMajorES4_DF16_DF16_DF16_fNS_16tensor_operation12element_wise11PassThroughES7_S7_DF16_DF16_EEvPKT2_PKT3_PT4_iiiT6_T7_T8_.numbered_sgpr, 10
	.set _ZN2ck17naive_gemm_kernelINS_13tensor_layout4gemm11ColumnMajorENS2_8RowMajorES4_DF16_DF16_DF16_fNS_16tensor_operation12element_wise11PassThroughES7_S7_DF16_DF16_EEvPKT2_PKT3_PT4_iiiT6_T7_T8_.num_named_barrier, 0
	.set _ZN2ck17naive_gemm_kernelINS_13tensor_layout4gemm11ColumnMajorENS2_8RowMajorES4_DF16_DF16_DF16_fNS_16tensor_operation12element_wise11PassThroughES7_S7_DF16_DF16_EEvPKT2_PKT3_PT4_iiiT6_T7_T8_.private_seg_size, 0
	.set _ZN2ck17naive_gemm_kernelINS_13tensor_layout4gemm11ColumnMajorENS2_8RowMajorES4_DF16_DF16_DF16_fNS_16tensor_operation12element_wise11PassThroughES7_S7_DF16_DF16_EEvPKT2_PKT3_PT4_iiiT6_T7_T8_.uses_vcc, 1
	.set _ZN2ck17naive_gemm_kernelINS_13tensor_layout4gemm11ColumnMajorENS2_8RowMajorES4_DF16_DF16_DF16_fNS_16tensor_operation12element_wise11PassThroughES7_S7_DF16_DF16_EEvPKT2_PKT3_PT4_iiiT6_T7_T8_.uses_flat_scratch, 0
	.set _ZN2ck17naive_gemm_kernelINS_13tensor_layout4gemm11ColumnMajorENS2_8RowMajorES4_DF16_DF16_DF16_fNS_16tensor_operation12element_wise11PassThroughES7_S7_DF16_DF16_EEvPKT2_PKT3_PT4_iiiT6_T7_T8_.has_dyn_sized_stack, 0
	.set _ZN2ck17naive_gemm_kernelINS_13tensor_layout4gemm11ColumnMajorENS2_8RowMajorES4_DF16_DF16_DF16_fNS_16tensor_operation12element_wise11PassThroughES7_S7_DF16_DF16_EEvPKT2_PKT3_PT4_iiiT6_T7_T8_.has_recursion, 0
	.set _ZN2ck17naive_gemm_kernelINS_13tensor_layout4gemm11ColumnMajorENS2_8RowMajorES4_DF16_DF16_DF16_fNS_16tensor_operation12element_wise11PassThroughES7_S7_DF16_DF16_EEvPKT2_PKT3_PT4_iiiT6_T7_T8_.has_indirect_call, 0
	.section	.AMDGPU.csdata,"",@progbits
; Kernel info:
; codeLenInByte = 352
; TotalNumSgprs: 12
; NumVgprs: 11
; ScratchSize: 0
; MemoryBound: 0
; FloatMode: 240
; IeeeMode: 1
; LDSByteSize: 0 bytes/workgroup (compile time only)
; SGPRBlocks: 0
; VGPRBlocks: 1
; NumSGPRsForWavesPerEU: 12
; NumVGPRsForWavesPerEU: 11
; Occupancy: 16
; WaveLimiterHint : 0
; COMPUTE_PGM_RSRC2:SCRATCH_EN: 0
; COMPUTE_PGM_RSRC2:USER_SGPR: 2
; COMPUTE_PGM_RSRC2:TRAP_HANDLER: 0
; COMPUTE_PGM_RSRC2:TGID_X_EN: 1
; COMPUTE_PGM_RSRC2:TGID_Y_EN: 1
; COMPUTE_PGM_RSRC2:TGID_Z_EN: 0
; COMPUTE_PGM_RSRC2:TIDIG_COMP_CNT: 1
	.section	.AMDGPU.gpr_maximums,"",@progbits
	.set amdgpu.max_num_vgpr, 0
	.set amdgpu.max_num_agpr, 0
	.set amdgpu.max_num_sgpr, 0
	.section	.AMDGPU.csdata,"",@progbits
	.type	__hip_cuid_1b6fc8bad4dc21c2,@object ; @__hip_cuid_1b6fc8bad4dc21c2
	.section	.bss,"aw",@nobits
	.globl	__hip_cuid_1b6fc8bad4dc21c2
__hip_cuid_1b6fc8bad4dc21c2:
	.byte	0                               ; 0x0
	.size	__hip_cuid_1b6fc8bad4dc21c2, 1

	.ident	"AMD clang version 22.0.0git (https://github.com/RadeonOpenCompute/llvm-project roc-7.2.4 26084 f58b06dce1f9c15707c5f808fd002e18c2accf7e)"
	.section	".note.GNU-stack","",@progbits
	.addrsig
	.addrsig_sym __hip_cuid_1b6fc8bad4dc21c2
	.amdgpu_metadata
---
amdhsa.kernels:
  - .args:           []
    .group_segment_fixed_size: 0
    .kernarg_segment_align: 4
    .kernarg_segment_size: 0
    .language:       OpenCL C
    .language_version:
      - 2
      - 0
    .max_flat_workgroup_size: 1024
    .name:           _ZN2ckL12flush_icacheEv
    .private_segment_fixed_size: 0
    .sgpr_count:     0
    .sgpr_spill_count: 0
    .symbol:         _ZN2ckL12flush_icacheEv.kd
    .uniform_work_group_size: 1
    .uses_dynamic_stack: false
    .vgpr_count:     0
    .vgpr_spill_count: 0
    .wavefront_size: 32
    .workgroup_processor_mode: 1
  - .args:
      - .actual_access:  read_only
        .address_space:  global
        .offset:         0
        .size:           8
        .value_kind:     global_buffer
      - .actual_access:  read_only
        .address_space:  global
        .offset:         8
        .size:           8
        .value_kind:     global_buffer
      - .actual_access:  write_only
        .address_space:  global
        .offset:         16
        .size:           8
        .value_kind:     global_buffer
      - .offset:         24
        .size:           64
        .value_kind:     by_value
      - .offset:         88
        .size:           64
        .value_kind:     by_value
      - .offset:         152
        .size:           64
        .value_kind:     by_value
      - .offset:         216
        .size:           112
        .value_kind:     by_value
    .group_segment_fixed_size: 32768
    .kernarg_segment_align: 8
    .kernarg_segment_size: 328
    .language:       OpenCL C
    .language_version:
      - 2
      - 0
    .max_flat_workgroup_size: 256
    .name:           _ZN2ck19kernel_gemm_dl_v1r3INS_28GridwiseGemmDl_km_kn_mn_v1r3ILi256EDF16_fDF16_LNS_25InMemoryDataOperationEnumE0ENS_16TensorDescriptorINS_5TupleIJNS_5EmbedINS4_IJiiEEENS4_IJNS_17integral_constantIiLi1EEEiEEELb0EEENS_7UnMergeINS4_IJiNS7_IiLi2EEEEEELb0EEENS_11PassThroughIiEEEEENS4_IJNS_8SequenceIJLi0EEEENSI_IJLi2EEEENSI_IJLi1EEEEEEENS4_IJNSI_IJLi1ELi2EEEENSI_IJLi3ELi4EEEENSI_IJLi5EEEEEEENSI_IJLi3ELi5ELi4EEEElEENS3_INS4_IJNS5_IS6_NS4_IJiS8_EEELb0EEESE_SG_EEENS4_IJSJ_SL_SK_EEESQ_SR_lEENS3_INS4_IJSU_SG_SG_EEESW_NS4_IJSN_NSI_IJLi3EEEENSI_IJLi4EEEEEEESO_lEELi128ELi128ELi16ELi2ELi4ELi4ELi1ENSI_IJLi8ELi2EEEES13_NSI_IJLi2ELi1ELi4ELi2EEEENSI_IJLi8ELi1ELi32ELi1EEEENSI_IJLi0ELi3ELi1ELi2EEEES16_NSI_IJLi1ELi1ELi4ELi1EEEES16_NSI_IJLi1ELi1ELi4ELi2EEEES14_S15_S16_S16_S17_S16_S18_NSI_IJLi0ELi1ELi2ELi3ELi4ELi5EEEELi5ELi4EEEDF16_DF16_NS3_INS4_IJSA_SE_SG_SG_NSB_INS4_IJiNS7_IiLi128EEEEEELb0EEENSF_ISC_EEEEENS4_IJSJ_SK_SL_SZ_SP_S10_EEENS4_IJSN_SO_SP_NSI_IJLi6EEEENSI_IJLi7ELi8EEEENSI_IJLi9EEEEEEENSI_IJLi6ELi7ELi8ELi9EEEElEENS3_INS4_IJSU_SE_SG_SG_S1D_S1E_EEENS4_IJSJ_SL_SK_SZ_SP_S10_EEES1K_S1L_lEENS3_INS4_IJSU_SG_SG_NSB_INS4_IJiSC_NS7_IiLi64EEEEEELb0EEES1S_EEENS4_IJSJ_SL_SK_SZ_S10_EEENS4_IJSN_SZ_S10_NSI_IJLi5ELi6ELi7EEEENSI_IJLi8ELi9ELi10EEEEEEENSI_IJLi5ELi6ELi7ELi8ELi9ELi10EEEElEENS_31BlockToCTileMap_M00_N00_M01_N01ILi128ELi128ES12_Lb0EEELb1ELb1EEEvPKT0_S24_PT1_T2_T3_T4_T5_
    .private_segment_fixed_size: 0
    .sgpr_count:     41
    .sgpr_spill_count: 0
    .symbol:         _ZN2ck19kernel_gemm_dl_v1r3INS_28GridwiseGemmDl_km_kn_mn_v1r3ILi256EDF16_fDF16_LNS_25InMemoryDataOperationEnumE0ENS_16TensorDescriptorINS_5TupleIJNS_5EmbedINS4_IJiiEEENS4_IJNS_17integral_constantIiLi1EEEiEEELb0EEENS_7UnMergeINS4_IJiNS7_IiLi2EEEEEELb0EEENS_11PassThroughIiEEEEENS4_IJNS_8SequenceIJLi0EEEENSI_IJLi2EEEENSI_IJLi1EEEEEEENS4_IJNSI_IJLi1ELi2EEEENSI_IJLi3ELi4EEEENSI_IJLi5EEEEEEENSI_IJLi3ELi5ELi4EEEElEENS3_INS4_IJNS5_IS6_NS4_IJiS8_EEELb0EEESE_SG_EEENS4_IJSJ_SL_SK_EEESQ_SR_lEENS3_INS4_IJSU_SG_SG_EEESW_NS4_IJSN_NSI_IJLi3EEEENSI_IJLi4EEEEEEESO_lEELi128ELi128ELi16ELi2ELi4ELi4ELi1ENSI_IJLi8ELi2EEEES13_NSI_IJLi2ELi1ELi4ELi2EEEENSI_IJLi8ELi1ELi32ELi1EEEENSI_IJLi0ELi3ELi1ELi2EEEES16_NSI_IJLi1ELi1ELi4ELi1EEEES16_NSI_IJLi1ELi1ELi4ELi2EEEES14_S15_S16_S16_S17_S16_S18_NSI_IJLi0ELi1ELi2ELi3ELi4ELi5EEEELi5ELi4EEEDF16_DF16_NS3_INS4_IJSA_SE_SG_SG_NSB_INS4_IJiNS7_IiLi128EEEEEELb0EEENSF_ISC_EEEEENS4_IJSJ_SK_SL_SZ_SP_S10_EEENS4_IJSN_SO_SP_NSI_IJLi6EEEENSI_IJLi7ELi8EEEENSI_IJLi9EEEEEEENSI_IJLi6ELi7ELi8ELi9EEEElEENS3_INS4_IJSU_SE_SG_SG_S1D_S1E_EEENS4_IJSJ_SL_SK_SZ_SP_S10_EEES1K_S1L_lEENS3_INS4_IJSU_SG_SG_NSB_INS4_IJiSC_NS7_IiLi64EEEEEELb0EEES1S_EEENS4_IJSJ_SL_SK_SZ_S10_EEENS4_IJSN_SZ_S10_NSI_IJLi5ELi6ELi7EEEENSI_IJLi8ELi9ELi10EEEEEEENSI_IJLi5ELi6ELi7ELi8ELi9ELi10EEEElEENS_31BlockToCTileMap_M00_N00_M01_N01ILi128ELi128ES12_Lb0EEELb1ELb1EEEvPKT0_S24_PT1_T2_T3_T4_T5_.kd
    .uniform_work_group_size: 1
    .uses_dynamic_stack: false
    .vgpr_count:     203
    .vgpr_spill_count: 0
    .wavefront_size: 32
    .workgroup_processor_mode: 1
  - .args:
      - .actual_access:  read_only
        .address_space:  global
        .offset:         0
        .size:           8
        .value_kind:     global_buffer
      - .actual_access:  read_only
        .address_space:  global
        .offset:         8
        .size:           8
        .value_kind:     global_buffer
      - .actual_access:  write_only
        .address_space:  global
        .offset:         16
        .size:           8
        .value_kind:     global_buffer
      - .offset:         24
        .size:           64
        .value_kind:     by_value
      - .offset:         88
        .size:           64
        .value_kind:     by_value
      - .offset:         152
        .size:           64
        .value_kind:     by_value
      - .offset:         216
        .size:           112
        .value_kind:     by_value
    .group_segment_fixed_size: 32768
    .kernarg_segment_align: 8
    .kernarg_segment_size: 328
    .language:       OpenCL C
    .language_version:
      - 2
      - 0
    .max_flat_workgroup_size: 256
    .name:           _ZN2ck19kernel_gemm_dl_v1r3INS_28GridwiseGemmDl_km_kn_mn_v1r3ILi256EDF16_fDF16_LNS_25InMemoryDataOperationEnumE0ENS_16TensorDescriptorINS_5TupleIJNS_5EmbedINS4_IJiiEEENS4_IJNS_17integral_constantIiLi1EEEiEEELb0EEENS_7UnMergeINS4_IJiNS7_IiLi2EEEEEELb0EEENS_11PassThroughIiEEEEENS4_IJNS_8SequenceIJLi0EEEENSI_IJLi2EEEENSI_IJLi1EEEEEEENS4_IJNSI_IJLi1ELi2EEEENSI_IJLi3ELi4EEEENSI_IJLi5EEEEEEENSI_IJLi3ELi5ELi4EEEElEENS3_INS4_IJNS5_IS6_NS4_IJiS8_EEELb0EEESE_SG_EEENS4_IJSJ_SL_SK_EEESQ_SR_lEENS3_INS4_IJSU_SG_SG_EEESW_NS4_IJSN_NSI_IJLi3EEEENSI_IJLi4EEEEEEESO_lEELi128ELi128ELi16ELi2ELi4ELi4ELi1ENSI_IJLi8ELi2EEEES13_NSI_IJLi2ELi1ELi4ELi2EEEENSI_IJLi8ELi1ELi32ELi1EEEENSI_IJLi0ELi3ELi1ELi2EEEES16_NSI_IJLi1ELi1ELi4ELi1EEEES16_NSI_IJLi1ELi1ELi4ELi2EEEES14_S15_S16_S16_S17_S16_S18_NSI_IJLi0ELi1ELi2ELi3ELi4ELi5EEEELi5ELi4EEEDF16_DF16_NS3_INS4_IJSA_SE_SG_SG_NSB_INS4_IJiNS7_IiLi128EEEEEELb0EEENSF_ISC_EEEEENS4_IJSJ_SK_SL_SZ_SP_S10_EEENS4_IJSN_SO_SP_NSI_IJLi6EEEENSI_IJLi7ELi8EEEENSI_IJLi9EEEEEEENSI_IJLi6ELi7ELi8ELi9EEEElEENS3_INS4_IJSU_SE_SG_SG_S1D_S1E_EEENS4_IJSJ_SL_SK_SZ_SP_S10_EEES1K_S1L_lEENS3_INS4_IJSU_SG_SG_NSB_INS4_IJiSC_NS7_IiLi64EEEEEELb0EEES1S_EEENS4_IJSJ_SL_SK_SZ_S10_EEENS4_IJSN_SZ_S10_NSI_IJLi5ELi6ELi7EEEENSI_IJLi8ELi9ELi10EEEEEEENSI_IJLi5ELi6ELi7ELi8ELi9ELi10EEEElEENS_31BlockToCTileMap_M00_N00_M01_N01ILi128ELi128ES12_Lb0EEELb1ELb0EEEvPKT0_S24_PT1_T2_T3_T4_T5_
    .private_segment_fixed_size: 0
    .sgpr_count:     39
    .sgpr_spill_count: 0
    .symbol:         _ZN2ck19kernel_gemm_dl_v1r3INS_28GridwiseGemmDl_km_kn_mn_v1r3ILi256EDF16_fDF16_LNS_25InMemoryDataOperationEnumE0ENS_16TensorDescriptorINS_5TupleIJNS_5EmbedINS4_IJiiEEENS4_IJNS_17integral_constantIiLi1EEEiEEELb0EEENS_7UnMergeINS4_IJiNS7_IiLi2EEEEEELb0EEENS_11PassThroughIiEEEEENS4_IJNS_8SequenceIJLi0EEEENSI_IJLi2EEEENSI_IJLi1EEEEEEENS4_IJNSI_IJLi1ELi2EEEENSI_IJLi3ELi4EEEENSI_IJLi5EEEEEEENSI_IJLi3ELi5ELi4EEEElEENS3_INS4_IJNS5_IS6_NS4_IJiS8_EEELb0EEESE_SG_EEENS4_IJSJ_SL_SK_EEESQ_SR_lEENS3_INS4_IJSU_SG_SG_EEESW_NS4_IJSN_NSI_IJLi3EEEENSI_IJLi4EEEEEEESO_lEELi128ELi128ELi16ELi2ELi4ELi4ELi1ENSI_IJLi8ELi2EEEES13_NSI_IJLi2ELi1ELi4ELi2EEEENSI_IJLi8ELi1ELi32ELi1EEEENSI_IJLi0ELi3ELi1ELi2EEEES16_NSI_IJLi1ELi1ELi4ELi1EEEES16_NSI_IJLi1ELi1ELi4ELi2EEEES14_S15_S16_S16_S17_S16_S18_NSI_IJLi0ELi1ELi2ELi3ELi4ELi5EEEELi5ELi4EEEDF16_DF16_NS3_INS4_IJSA_SE_SG_SG_NSB_INS4_IJiNS7_IiLi128EEEEEELb0EEENSF_ISC_EEEEENS4_IJSJ_SK_SL_SZ_SP_S10_EEENS4_IJSN_SO_SP_NSI_IJLi6EEEENSI_IJLi7ELi8EEEENSI_IJLi9EEEEEEENSI_IJLi6ELi7ELi8ELi9EEEElEENS3_INS4_IJSU_SE_SG_SG_S1D_S1E_EEENS4_IJSJ_SL_SK_SZ_SP_S10_EEES1K_S1L_lEENS3_INS4_IJSU_SG_SG_NSB_INS4_IJiSC_NS7_IiLi64EEEEEELb0EEES1S_EEENS4_IJSJ_SL_SK_SZ_S10_EEENS4_IJSN_SZ_S10_NSI_IJLi5ELi6ELi7EEEENSI_IJLi8ELi9ELi10EEEEEEENSI_IJLi5ELi6ELi7ELi8ELi9ELi10EEEElEENS_31BlockToCTileMap_M00_N00_M01_N01ILi128ELi128ES12_Lb0EEELb1ELb0EEEvPKT0_S24_PT1_T2_T3_T4_T5_.kd
    .uniform_work_group_size: 1
    .uses_dynamic_stack: false
    .vgpr_count:     198
    .vgpr_spill_count: 0
    .wavefront_size: 32
    .workgroup_processor_mode: 1
  - .args:
      - .actual_access:  read_only
        .address_space:  global
        .offset:         0
        .size:           8
        .value_kind:     global_buffer
      - .actual_access:  read_only
        .address_space:  global
        .offset:         8
        .size:           8
        .value_kind:     global_buffer
      - .actual_access:  write_only
        .address_space:  global
        .offset:         16
        .size:           8
        .value_kind:     global_buffer
      - .offset:         24
        .size:           64
        .value_kind:     by_value
      - .offset:         88
        .size:           64
        .value_kind:     by_value
      - .offset:         152
        .size:           64
        .value_kind:     by_value
      - .offset:         216
        .size:           112
        .value_kind:     by_value
    .group_segment_fixed_size: 32768
    .kernarg_segment_align: 8
    .kernarg_segment_size: 328
    .language:       OpenCL C
    .language_version:
      - 2
      - 0
    .max_flat_workgroup_size: 256
    .name:           _ZN2ck19kernel_gemm_dl_v1r3INS_28GridwiseGemmDl_km_kn_mn_v1r3ILi256EDF16_fDF16_LNS_25InMemoryDataOperationEnumE0ENS_16TensorDescriptorINS_5TupleIJNS_5EmbedINS4_IJiiEEENS4_IJNS_17integral_constantIiLi1EEEiEEELb0EEENS_7UnMergeINS4_IJiNS7_IiLi2EEEEEELb0EEENS_11PassThroughIiEEEEENS4_IJNS_8SequenceIJLi0EEEENSI_IJLi2EEEENSI_IJLi1EEEEEEENS4_IJNSI_IJLi1ELi2EEEENSI_IJLi3ELi4EEEENSI_IJLi5EEEEEEENSI_IJLi3ELi5ELi4EEEElEENS3_INS4_IJNS5_IS6_NS4_IJiS8_EEELb0EEESE_SG_EEENS4_IJSJ_SL_SK_EEESQ_SR_lEENS3_INS4_IJSU_SG_SG_EEESW_NS4_IJSN_NSI_IJLi3EEEENSI_IJLi4EEEEEEESO_lEELi128ELi128ELi16ELi2ELi4ELi4ELi1ENSI_IJLi8ELi2EEEES13_NSI_IJLi2ELi1ELi4ELi2EEEENSI_IJLi8ELi1ELi32ELi1EEEENSI_IJLi0ELi3ELi1ELi2EEEES16_NSI_IJLi1ELi1ELi4ELi1EEEES16_NSI_IJLi1ELi1ELi4ELi2EEEES14_S15_S16_S16_S17_S16_S18_NSI_IJLi0ELi1ELi2ELi3ELi4ELi5EEEELi5ELi4EEEDF16_DF16_NS3_INS4_IJSA_SE_SG_SG_NSB_INS4_IJiNS7_IiLi128EEEEEELb0EEENSF_ISC_EEEEENS4_IJSJ_SK_SL_SZ_SP_S10_EEENS4_IJSN_SO_SP_NSI_IJLi6EEEENSI_IJLi7ELi8EEEENSI_IJLi9EEEEEEENSI_IJLi6ELi7ELi8ELi9EEEElEENS3_INS4_IJSU_SE_SG_SG_S1D_S1E_EEENS4_IJSJ_SL_SK_SZ_SP_S10_EEES1K_S1L_lEENS3_INS4_IJSU_SG_SG_NSB_INS4_IJiSC_NS7_IiLi64EEEEEELb0EEES1S_EEENS4_IJSJ_SL_SK_SZ_S10_EEENS4_IJSN_SZ_S10_NSI_IJLi5ELi6ELi7EEEENSI_IJLi8ELi9ELi10EEEEEEENSI_IJLi5ELi6ELi7ELi8ELi9ELi10EEEElEENS_31BlockToCTileMap_M00_N00_M01_N01ILi128ELi128ES12_Lb0EEELb0ELb1EEEvPKT0_S24_PT1_T2_T3_T4_T5_
    .private_segment_fixed_size: 0
    .sgpr_count:     29
    .sgpr_spill_count: 0
    .symbol:         _ZN2ck19kernel_gemm_dl_v1r3INS_28GridwiseGemmDl_km_kn_mn_v1r3ILi256EDF16_fDF16_LNS_25InMemoryDataOperationEnumE0ENS_16TensorDescriptorINS_5TupleIJNS_5EmbedINS4_IJiiEEENS4_IJNS_17integral_constantIiLi1EEEiEEELb0EEENS_7UnMergeINS4_IJiNS7_IiLi2EEEEEELb0EEENS_11PassThroughIiEEEEENS4_IJNS_8SequenceIJLi0EEEENSI_IJLi2EEEENSI_IJLi1EEEEEEENS4_IJNSI_IJLi1ELi2EEEENSI_IJLi3ELi4EEEENSI_IJLi5EEEEEEENSI_IJLi3ELi5ELi4EEEElEENS3_INS4_IJNS5_IS6_NS4_IJiS8_EEELb0EEESE_SG_EEENS4_IJSJ_SL_SK_EEESQ_SR_lEENS3_INS4_IJSU_SG_SG_EEESW_NS4_IJSN_NSI_IJLi3EEEENSI_IJLi4EEEEEEESO_lEELi128ELi128ELi16ELi2ELi4ELi4ELi1ENSI_IJLi8ELi2EEEES13_NSI_IJLi2ELi1ELi4ELi2EEEENSI_IJLi8ELi1ELi32ELi1EEEENSI_IJLi0ELi3ELi1ELi2EEEES16_NSI_IJLi1ELi1ELi4ELi1EEEES16_NSI_IJLi1ELi1ELi4ELi2EEEES14_S15_S16_S16_S17_S16_S18_NSI_IJLi0ELi1ELi2ELi3ELi4ELi5EEEELi5ELi4EEEDF16_DF16_NS3_INS4_IJSA_SE_SG_SG_NSB_INS4_IJiNS7_IiLi128EEEEEELb0EEENSF_ISC_EEEEENS4_IJSJ_SK_SL_SZ_SP_S10_EEENS4_IJSN_SO_SP_NSI_IJLi6EEEENSI_IJLi7ELi8EEEENSI_IJLi9EEEEEEENSI_IJLi6ELi7ELi8ELi9EEEElEENS3_INS4_IJSU_SE_SG_SG_S1D_S1E_EEENS4_IJSJ_SL_SK_SZ_SP_S10_EEES1K_S1L_lEENS3_INS4_IJSU_SG_SG_NSB_INS4_IJiSC_NS7_IiLi64EEEEEELb0EEES1S_EEENS4_IJSJ_SL_SK_SZ_S10_EEENS4_IJSN_SZ_S10_NSI_IJLi5ELi6ELi7EEEENSI_IJLi8ELi9ELi10EEEEEEENSI_IJLi5ELi6ELi7ELi8ELi9ELi10EEEElEENS_31BlockToCTileMap_M00_N00_M01_N01ILi128ELi128ES12_Lb0EEELb0ELb1EEEvPKT0_S24_PT1_T2_T3_T4_T5_.kd
    .uniform_work_group_size: 1
    .uses_dynamic_stack: false
    .vgpr_count:     189
    .vgpr_spill_count: 0
    .wavefront_size: 32
    .workgroup_processor_mode: 1
  - .args:
      - .actual_access:  read_only
        .address_space:  global
        .offset:         0
        .size:           8
        .value_kind:     global_buffer
      - .actual_access:  read_only
        .address_space:  global
        .offset:         8
        .size:           8
        .value_kind:     global_buffer
      - .actual_access:  write_only
        .address_space:  global
        .offset:         16
        .size:           8
        .value_kind:     global_buffer
      - .offset:         24
        .size:           64
        .value_kind:     by_value
      - .offset:         88
        .size:           64
        .value_kind:     by_value
      - .offset:         152
        .size:           64
        .value_kind:     by_value
      - .offset:         216
        .size:           112
        .value_kind:     by_value
    .group_segment_fixed_size: 32768
    .kernarg_segment_align: 8
    .kernarg_segment_size: 328
    .language:       OpenCL C
    .language_version:
      - 2
      - 0
    .max_flat_workgroup_size: 256
    .name:           _ZN2ck19kernel_gemm_dl_v1r3INS_28GridwiseGemmDl_km_kn_mn_v1r3ILi256EDF16_fDF16_LNS_25InMemoryDataOperationEnumE0ENS_16TensorDescriptorINS_5TupleIJNS_5EmbedINS4_IJiiEEENS4_IJNS_17integral_constantIiLi1EEEiEEELb0EEENS_7UnMergeINS4_IJiNS7_IiLi2EEEEEELb0EEENS_11PassThroughIiEEEEENS4_IJNS_8SequenceIJLi0EEEENSI_IJLi2EEEENSI_IJLi1EEEEEEENS4_IJNSI_IJLi1ELi2EEEENSI_IJLi3ELi4EEEENSI_IJLi5EEEEEEENSI_IJLi3ELi5ELi4EEEElEENS3_INS4_IJNS5_IS6_NS4_IJiS8_EEELb0EEESE_SG_EEENS4_IJSJ_SL_SK_EEESQ_SR_lEENS3_INS4_IJSU_SG_SG_EEESW_NS4_IJSN_NSI_IJLi3EEEENSI_IJLi4EEEEEEESO_lEELi128ELi128ELi16ELi2ELi4ELi4ELi1ENSI_IJLi8ELi2EEEES13_NSI_IJLi2ELi1ELi4ELi2EEEENSI_IJLi8ELi1ELi32ELi1EEEENSI_IJLi0ELi3ELi1ELi2EEEES16_NSI_IJLi1ELi1ELi4ELi1EEEES16_NSI_IJLi1ELi1ELi4ELi2EEEES14_S15_S16_S16_S17_S16_S18_NSI_IJLi0ELi1ELi2ELi3ELi4ELi5EEEELi5ELi4EEEDF16_DF16_NS3_INS4_IJSA_SE_SG_SG_NSB_INS4_IJiNS7_IiLi128EEEEEELb0EEENSF_ISC_EEEEENS4_IJSJ_SK_SL_SZ_SP_S10_EEENS4_IJSN_SO_SP_NSI_IJLi6EEEENSI_IJLi7ELi8EEEENSI_IJLi9EEEEEEENSI_IJLi6ELi7ELi8ELi9EEEElEENS3_INS4_IJSU_SE_SG_SG_S1D_S1E_EEENS4_IJSJ_SL_SK_SZ_SP_S10_EEES1K_S1L_lEENS3_INS4_IJSU_SG_SG_NSB_INS4_IJiSC_NS7_IiLi64EEEEEELb0EEES1S_EEENS4_IJSJ_SL_SK_SZ_S10_EEENS4_IJSN_SZ_S10_NSI_IJLi5ELi6ELi7EEEENSI_IJLi8ELi9ELi10EEEEEEENSI_IJLi5ELi6ELi7ELi8ELi9ELi10EEEElEENS_31BlockToCTileMap_M00_N00_M01_N01ILi128ELi128ES12_Lb0EEELb0ELb0EEEvPKT0_S24_PT1_T2_T3_T4_T5_
    .private_segment_fixed_size: 0
    .sgpr_count:     27
    .sgpr_spill_count: 0
    .symbol:         _ZN2ck19kernel_gemm_dl_v1r3INS_28GridwiseGemmDl_km_kn_mn_v1r3ILi256EDF16_fDF16_LNS_25InMemoryDataOperationEnumE0ENS_16TensorDescriptorINS_5TupleIJNS_5EmbedINS4_IJiiEEENS4_IJNS_17integral_constantIiLi1EEEiEEELb0EEENS_7UnMergeINS4_IJiNS7_IiLi2EEEEEELb0EEENS_11PassThroughIiEEEEENS4_IJNS_8SequenceIJLi0EEEENSI_IJLi2EEEENSI_IJLi1EEEEEEENS4_IJNSI_IJLi1ELi2EEEENSI_IJLi3ELi4EEEENSI_IJLi5EEEEEEENSI_IJLi3ELi5ELi4EEEElEENS3_INS4_IJNS5_IS6_NS4_IJiS8_EEELb0EEESE_SG_EEENS4_IJSJ_SL_SK_EEESQ_SR_lEENS3_INS4_IJSU_SG_SG_EEESW_NS4_IJSN_NSI_IJLi3EEEENSI_IJLi4EEEEEEESO_lEELi128ELi128ELi16ELi2ELi4ELi4ELi1ENSI_IJLi8ELi2EEEES13_NSI_IJLi2ELi1ELi4ELi2EEEENSI_IJLi8ELi1ELi32ELi1EEEENSI_IJLi0ELi3ELi1ELi2EEEES16_NSI_IJLi1ELi1ELi4ELi1EEEES16_NSI_IJLi1ELi1ELi4ELi2EEEES14_S15_S16_S16_S17_S16_S18_NSI_IJLi0ELi1ELi2ELi3ELi4ELi5EEEELi5ELi4EEEDF16_DF16_NS3_INS4_IJSA_SE_SG_SG_NSB_INS4_IJiNS7_IiLi128EEEEEELb0EEENSF_ISC_EEEEENS4_IJSJ_SK_SL_SZ_SP_S10_EEENS4_IJSN_SO_SP_NSI_IJLi6EEEENSI_IJLi7ELi8EEEENSI_IJLi9EEEEEEENSI_IJLi6ELi7ELi8ELi9EEEElEENS3_INS4_IJSU_SE_SG_SG_S1D_S1E_EEENS4_IJSJ_SL_SK_SZ_SP_S10_EEES1K_S1L_lEENS3_INS4_IJSU_SG_SG_NSB_INS4_IJiSC_NS7_IiLi64EEEEEELb0EEES1S_EEENS4_IJSJ_SL_SK_SZ_S10_EEENS4_IJSN_SZ_S10_NSI_IJLi5ELi6ELi7EEEENSI_IJLi8ELi9ELi10EEEEEEENSI_IJLi5ELi6ELi7ELi8ELi9ELi10EEEElEENS_31BlockToCTileMap_M00_N00_M01_N01ILi128ELi128ES12_Lb0EEELb0ELb0EEEvPKT0_S24_PT1_T2_T3_T4_T5_.kd
    .uniform_work_group_size: 1
    .uses_dynamic_stack: false
    .vgpr_count:     141
    .vgpr_spill_count: 0
    .wavefront_size: 32
    .workgroup_processor_mode: 1
  - .args:
      - .actual_access:  read_only
        .address_space:  global
        .offset:         0
        .size:           8
        .value_kind:     global_buffer
      - .actual_access:  read_only
        .address_space:  global
        .offset:         8
        .size:           8
        .value_kind:     global_buffer
      - .actual_access:  write_only
        .address_space:  global
        .offset:         16
        .size:           8
        .value_kind:     global_buffer
      - .offset:         24
        .size:           4
        .value_kind:     by_value
      - .offset:         28
        .size:           4
        .value_kind:     by_value
      - .offset:         32
        .size:           4
        .value_kind:     by_value
      - .offset:         36
        .size:           1
        .value_kind:     by_value
      - .offset:         37
        .size:           1
        .value_kind:     by_value
      - .offset:         38
        .size:           1
        .value_kind:     by_value
      - .offset:         40
        .size:           4
        .value_kind:     hidden_block_count_x
      - .offset:         44
        .size:           4
        .value_kind:     hidden_block_count_y
      - .offset:         48
        .size:           4
        .value_kind:     hidden_block_count_z
      - .offset:         52
        .size:           2
        .value_kind:     hidden_group_size_x
      - .offset:         54
        .size:           2
        .value_kind:     hidden_group_size_y
      - .offset:         56
        .size:           2
        .value_kind:     hidden_group_size_z
      - .offset:         58
        .size:           2
        .value_kind:     hidden_remainder_x
      - .offset:         60
        .size:           2
        .value_kind:     hidden_remainder_y
      - .offset:         62
        .size:           2
        .value_kind:     hidden_remainder_z
      - .offset:         80
        .size:           8
        .value_kind:     hidden_global_offset_x
      - .offset:         88
        .size:           8
        .value_kind:     hidden_global_offset_y
      - .offset:         96
        .size:           8
        .value_kind:     hidden_global_offset_z
      - .offset:         104
        .size:           2
        .value_kind:     hidden_grid_dims
    .group_segment_fixed_size: 0
    .kernarg_segment_align: 8
    .kernarg_segment_size: 296
    .language:       OpenCL C
    .language_version:
      - 2
      - 0
    .max_flat_workgroup_size: 256
    .name:           _ZN2ck17naive_gemm_kernelINS_13tensor_layout4gemm11ColumnMajorENS2_8RowMajorES4_DF16_DF16_DF16_fNS_16tensor_operation12element_wise11PassThroughES7_S7_DF16_DF16_EEvPKT2_PKT3_PT4_iiiT6_T7_T8_
    .private_segment_fixed_size: 0
    .sgpr_count:     12
    .sgpr_spill_count: 0
    .symbol:         _ZN2ck17naive_gemm_kernelINS_13tensor_layout4gemm11ColumnMajorENS2_8RowMajorES4_DF16_DF16_DF16_fNS_16tensor_operation12element_wise11PassThroughES7_S7_DF16_DF16_EEvPKT2_PKT3_PT4_iiiT6_T7_T8_.kd
    .uniform_work_group_size: 1
    .uses_dynamic_stack: false
    .vgpr_count:     11
    .vgpr_spill_count: 0
    .wavefront_size: 32
    .workgroup_processor_mode: 1
amdhsa.target:   amdgcn-amd-amdhsa--gfx1201
amdhsa.version:
  - 1
  - 2
...

	.end_amdgpu_metadata
